;; amdgpu-corpus repo=ROCm/rocFFT kind=compiled arch=gfx1201 opt=O3
	.text
	.amdgcn_target "amdgcn-amd-amdhsa--gfx1201"
	.amdhsa_code_object_version 6
	.protected	fft_rtc_back_len432_factors_3_16_3_3_wgs_54_tpt_27_halfLds_dp_ip_CI_unitstride_sbrr_R2C_dirReg ; -- Begin function fft_rtc_back_len432_factors_3_16_3_3_wgs_54_tpt_27_halfLds_dp_ip_CI_unitstride_sbrr_R2C_dirReg
	.globl	fft_rtc_back_len432_factors_3_16_3_3_wgs_54_tpt_27_halfLds_dp_ip_CI_unitstride_sbrr_R2C_dirReg
	.p2align	8
	.type	fft_rtc_back_len432_factors_3_16_3_3_wgs_54_tpt_27_halfLds_dp_ip_CI_unitstride_sbrr_R2C_dirReg,@function
fft_rtc_back_len432_factors_3_16_3_3_wgs_54_tpt_27_halfLds_dp_ip_CI_unitstride_sbrr_R2C_dirReg: ; @fft_rtc_back_len432_factors_3_16_3_3_wgs_54_tpt_27_halfLds_dp_ip_CI_unitstride_sbrr_R2C_dirReg
; %bb.0:
	s_clause 0x2
	s_load_b128 s[4:7], s[0:1], 0x0
	s_load_b64 s[8:9], s[0:1], 0x50
	s_load_b64 s[10:11], s[0:1], 0x18
	v_mul_u32_u24_e32 v1, 0x97c, v0
	v_mov_b32_e32 v3, 0
	s_delay_alu instid0(VALU_DEP_2) | instskip(SKIP_2) | instid1(VALU_DEP_4)
	v_lshrrev_b32_e32 v9, 16, v1
	v_mov_b32_e32 v1, 0
	v_mov_b32_e32 v2, 0
	;; [unrolled: 1-line block ×3, first 2 shown]
	s_delay_alu instid0(VALU_DEP_4) | instskip(SKIP_2) | instid1(VALU_DEP_1)
	v_lshl_add_u32 v5, ttmp9, 1, v9
	s_wait_kmcnt 0x0
	v_cmp_lt_u64_e64 s2, s[6:7], 2
	s_and_b32 vcc_lo, exec_lo, s2
	s_cbranch_vccnz .LBB0_8
; %bb.1:
	s_load_b64 s[2:3], s[0:1], 0x10
	v_mov_b32_e32 v1, 0
	v_mov_b32_e32 v2, 0
	s_add_nc_u64 s[12:13], s[10:11], 8
	s_mov_b64 s[14:15], 1
	s_wait_kmcnt 0x0
	s_add_nc_u64 s[16:17], s[2:3], 8
	s_mov_b32 s3, 0
.LBB0_2:                                ; =>This Inner Loop Header: Depth=1
	s_load_b64 s[18:19], s[16:17], 0x0
                                        ; implicit-def: $vgpr7_vgpr8
	s_mov_b32 s2, exec_lo
	s_wait_kmcnt 0x0
	v_or_b32_e32 v4, s19, v6
	s_delay_alu instid0(VALU_DEP_1)
	v_cmpx_ne_u64_e32 0, v[3:4]
	s_wait_alu 0xfffe
	s_xor_b32 s20, exec_lo, s2
	s_cbranch_execz .LBB0_4
; %bb.3:                                ;   in Loop: Header=BB0_2 Depth=1
	s_cvt_f32_u32 s2, s18
	s_cvt_f32_u32 s21, s19
	s_sub_nc_u64 s[24:25], 0, s[18:19]
	s_wait_alu 0xfffe
	s_delay_alu instid0(SALU_CYCLE_1) | instskip(SKIP_1) | instid1(SALU_CYCLE_2)
	s_fmamk_f32 s2, s21, 0x4f800000, s2
	s_wait_alu 0xfffe
	v_s_rcp_f32 s2, s2
	s_delay_alu instid0(TRANS32_DEP_1) | instskip(SKIP_1) | instid1(SALU_CYCLE_2)
	s_mul_f32 s2, s2, 0x5f7ffffc
	s_wait_alu 0xfffe
	s_mul_f32 s21, s2, 0x2f800000
	s_wait_alu 0xfffe
	s_delay_alu instid0(SALU_CYCLE_2) | instskip(SKIP_1) | instid1(SALU_CYCLE_2)
	s_trunc_f32 s21, s21
	s_wait_alu 0xfffe
	s_fmamk_f32 s2, s21, 0xcf800000, s2
	s_cvt_u32_f32 s23, s21
	s_wait_alu 0xfffe
	s_delay_alu instid0(SALU_CYCLE_1) | instskip(SKIP_1) | instid1(SALU_CYCLE_2)
	s_cvt_u32_f32 s22, s2
	s_wait_alu 0xfffe
	s_mul_u64 s[26:27], s[24:25], s[22:23]
	s_wait_alu 0xfffe
	s_mul_hi_u32 s29, s22, s27
	s_mul_i32 s28, s22, s27
	s_mul_hi_u32 s2, s22, s26
	s_mul_i32 s30, s23, s26
	s_wait_alu 0xfffe
	s_add_nc_u64 s[28:29], s[2:3], s[28:29]
	s_mul_hi_u32 s21, s23, s26
	s_mul_hi_u32 s31, s23, s27
	s_add_co_u32 s2, s28, s30
	s_wait_alu 0xfffe
	s_add_co_ci_u32 s2, s29, s21
	s_mul_i32 s26, s23, s27
	s_add_co_ci_u32 s27, s31, 0
	s_wait_alu 0xfffe
	s_add_nc_u64 s[26:27], s[2:3], s[26:27]
	s_wait_alu 0xfffe
	v_add_co_u32 v4, s2, s22, s26
	s_delay_alu instid0(VALU_DEP_1) | instskip(SKIP_1) | instid1(VALU_DEP_1)
	s_cmp_lg_u32 s2, 0
	s_add_co_ci_u32 s23, s23, s27
	v_readfirstlane_b32 s22, v4
	s_wait_alu 0xfffe
	s_delay_alu instid0(VALU_DEP_1)
	s_mul_u64 s[24:25], s[24:25], s[22:23]
	s_wait_alu 0xfffe
	s_mul_hi_u32 s27, s22, s25
	s_mul_i32 s26, s22, s25
	s_mul_hi_u32 s2, s22, s24
	s_mul_i32 s28, s23, s24
	s_wait_alu 0xfffe
	s_add_nc_u64 s[26:27], s[2:3], s[26:27]
	s_mul_hi_u32 s21, s23, s24
	s_mul_hi_u32 s22, s23, s25
	s_wait_alu 0xfffe
	s_add_co_u32 s2, s26, s28
	s_add_co_ci_u32 s2, s27, s21
	s_mul_i32 s24, s23, s25
	s_add_co_ci_u32 s25, s22, 0
	s_wait_alu 0xfffe
	s_add_nc_u64 s[24:25], s[2:3], s[24:25]
	s_wait_alu 0xfffe
	v_add_co_u32 v4, s2, v4, s24
	s_delay_alu instid0(VALU_DEP_1) | instskip(SKIP_1) | instid1(VALU_DEP_1)
	s_cmp_lg_u32 s2, 0
	s_add_co_ci_u32 s2, s23, s25
	v_mul_hi_u32 v14, v5, v4
	s_wait_alu 0xfffe
	v_mad_co_u64_u32 v[7:8], null, v5, s2, 0
	v_mad_co_u64_u32 v[10:11], null, v6, v4, 0
	;; [unrolled: 1-line block ×3, first 2 shown]
	s_delay_alu instid0(VALU_DEP_3) | instskip(SKIP_1) | instid1(VALU_DEP_4)
	v_add_co_u32 v4, vcc_lo, v14, v7
	s_wait_alu 0xfffd
	v_add_co_ci_u32_e32 v7, vcc_lo, 0, v8, vcc_lo
	s_delay_alu instid0(VALU_DEP_2) | instskip(SKIP_1) | instid1(VALU_DEP_2)
	v_add_co_u32 v4, vcc_lo, v4, v10
	s_wait_alu 0xfffd
	v_add_co_ci_u32_e32 v4, vcc_lo, v7, v11, vcc_lo
	s_wait_alu 0xfffd
	v_add_co_ci_u32_e32 v7, vcc_lo, 0, v13, vcc_lo
	s_delay_alu instid0(VALU_DEP_2) | instskip(SKIP_1) | instid1(VALU_DEP_2)
	v_add_co_u32 v4, vcc_lo, v4, v12
	s_wait_alu 0xfffd
	v_add_co_ci_u32_e32 v10, vcc_lo, 0, v7, vcc_lo
	s_delay_alu instid0(VALU_DEP_2) | instskip(SKIP_1) | instid1(VALU_DEP_3)
	v_mul_lo_u32 v11, s19, v4
	v_mad_co_u64_u32 v[7:8], null, s18, v4, 0
	v_mul_lo_u32 v12, s18, v10
	s_delay_alu instid0(VALU_DEP_2) | instskip(NEXT) | instid1(VALU_DEP_2)
	v_sub_co_u32 v7, vcc_lo, v5, v7
	v_add3_u32 v8, v8, v12, v11
	s_delay_alu instid0(VALU_DEP_1) | instskip(SKIP_1) | instid1(VALU_DEP_1)
	v_sub_nc_u32_e32 v11, v6, v8
	s_wait_alu 0xfffd
	v_subrev_co_ci_u32_e64 v11, s2, s19, v11, vcc_lo
	v_add_co_u32 v12, s2, v4, 2
	s_wait_alu 0xf1ff
	v_add_co_ci_u32_e64 v13, s2, 0, v10, s2
	v_sub_co_u32 v14, s2, v7, s18
	v_sub_co_ci_u32_e32 v8, vcc_lo, v6, v8, vcc_lo
	s_wait_alu 0xf1ff
	v_subrev_co_ci_u32_e64 v11, s2, 0, v11, s2
	s_delay_alu instid0(VALU_DEP_3) | instskip(NEXT) | instid1(VALU_DEP_3)
	v_cmp_le_u32_e32 vcc_lo, s18, v14
	v_cmp_eq_u32_e64 s2, s19, v8
	s_wait_alu 0xfffd
	v_cndmask_b32_e64 v14, 0, -1, vcc_lo
	v_cmp_le_u32_e32 vcc_lo, s19, v11
	s_wait_alu 0xfffd
	v_cndmask_b32_e64 v15, 0, -1, vcc_lo
	v_cmp_le_u32_e32 vcc_lo, s18, v7
	;; [unrolled: 3-line block ×3, first 2 shown]
	s_wait_alu 0xfffd
	v_cndmask_b32_e64 v16, 0, -1, vcc_lo
	v_cmp_eq_u32_e32 vcc_lo, s19, v11
	s_wait_alu 0xf1ff
	s_delay_alu instid0(VALU_DEP_2)
	v_cndmask_b32_e64 v7, v16, v7, s2
	s_wait_alu 0xfffd
	v_cndmask_b32_e32 v11, v15, v14, vcc_lo
	v_add_co_u32 v14, vcc_lo, v4, 1
	s_wait_alu 0xfffd
	v_add_co_ci_u32_e32 v15, vcc_lo, 0, v10, vcc_lo
	s_delay_alu instid0(VALU_DEP_3) | instskip(SKIP_1) | instid1(VALU_DEP_2)
	v_cmp_ne_u32_e32 vcc_lo, 0, v11
	s_wait_alu 0xfffd
	v_dual_cndmask_b32 v8, v15, v13 :: v_dual_cndmask_b32 v11, v14, v12
	v_cmp_ne_u32_e32 vcc_lo, 0, v7
	s_wait_alu 0xfffd
	s_delay_alu instid0(VALU_DEP_2)
	v_dual_cndmask_b32 v8, v10, v8 :: v_dual_cndmask_b32 v7, v4, v11
.LBB0_4:                                ;   in Loop: Header=BB0_2 Depth=1
	s_wait_alu 0xfffe
	s_and_not1_saveexec_b32 s2, s20
	s_cbranch_execz .LBB0_6
; %bb.5:                                ;   in Loop: Header=BB0_2 Depth=1
	v_cvt_f32_u32_e32 v4, s18
	s_sub_co_i32 s20, 0, s18
	s_delay_alu instid0(VALU_DEP_1) | instskip(NEXT) | instid1(TRANS32_DEP_1)
	v_rcp_iflag_f32_e32 v4, v4
	v_mul_f32_e32 v4, 0x4f7ffffe, v4
	s_delay_alu instid0(VALU_DEP_1) | instskip(SKIP_1) | instid1(VALU_DEP_1)
	v_cvt_u32_f32_e32 v4, v4
	s_wait_alu 0xfffe
	v_mul_lo_u32 v7, s20, v4
	s_delay_alu instid0(VALU_DEP_1) | instskip(NEXT) | instid1(VALU_DEP_1)
	v_mul_hi_u32 v7, v4, v7
	v_add_nc_u32_e32 v4, v4, v7
	s_delay_alu instid0(VALU_DEP_1) | instskip(NEXT) | instid1(VALU_DEP_1)
	v_mul_hi_u32 v4, v5, v4
	v_mul_lo_u32 v7, v4, s18
	v_add_nc_u32_e32 v8, 1, v4
	s_delay_alu instid0(VALU_DEP_2) | instskip(NEXT) | instid1(VALU_DEP_1)
	v_sub_nc_u32_e32 v7, v5, v7
	v_subrev_nc_u32_e32 v10, s18, v7
	v_cmp_le_u32_e32 vcc_lo, s18, v7
	s_wait_alu 0xfffd
	s_delay_alu instid0(VALU_DEP_2) | instskip(NEXT) | instid1(VALU_DEP_1)
	v_dual_cndmask_b32 v7, v7, v10 :: v_dual_cndmask_b32 v4, v4, v8
	v_cmp_le_u32_e32 vcc_lo, s18, v7
	s_delay_alu instid0(VALU_DEP_2) | instskip(SKIP_1) | instid1(VALU_DEP_1)
	v_add_nc_u32_e32 v8, 1, v4
	s_wait_alu 0xfffd
	v_dual_cndmask_b32 v7, v4, v8 :: v_dual_mov_b32 v8, v3
.LBB0_6:                                ;   in Loop: Header=BB0_2 Depth=1
	s_wait_alu 0xfffe
	s_or_b32 exec_lo, exec_lo, s2
	s_load_b64 s[20:21], s[12:13], 0x0
	s_delay_alu instid0(VALU_DEP_1)
	v_mul_lo_u32 v4, v8, s18
	v_mul_lo_u32 v12, v7, s19
	v_mad_co_u64_u32 v[10:11], null, v7, s18, 0
	s_add_nc_u64 s[14:15], s[14:15], 1
	s_add_nc_u64 s[12:13], s[12:13], 8
	s_wait_alu 0xfffe
	v_cmp_ge_u64_e64 s2, s[14:15], s[6:7]
	s_add_nc_u64 s[16:17], s[16:17], 8
	s_delay_alu instid0(VALU_DEP_2) | instskip(NEXT) | instid1(VALU_DEP_3)
	v_add3_u32 v4, v11, v12, v4
	v_sub_co_u32 v5, vcc_lo, v5, v10
	s_wait_alu 0xfffd
	s_delay_alu instid0(VALU_DEP_2) | instskip(SKIP_3) | instid1(VALU_DEP_2)
	v_sub_co_ci_u32_e32 v4, vcc_lo, v6, v4, vcc_lo
	s_and_b32 vcc_lo, exec_lo, s2
	s_wait_kmcnt 0x0
	v_mul_lo_u32 v6, s21, v5
	v_mul_lo_u32 v4, s20, v4
	v_mad_co_u64_u32 v[1:2], null, s20, v5, v[1:2]
	s_delay_alu instid0(VALU_DEP_1)
	v_add3_u32 v2, v6, v2, v4
	s_wait_alu 0xfffe
	s_cbranch_vccnz .LBB0_9
; %bb.7:                                ;   in Loop: Header=BB0_2 Depth=1
	v_dual_mov_b32 v5, v7 :: v_dual_mov_b32 v6, v8
	s_branch .LBB0_2
.LBB0_8:
	v_dual_mov_b32 v8, v6 :: v_dual_mov_b32 v7, v5
.LBB0_9:
	s_lshl_b64 s[2:3], s[6:7], 3
	v_mul_hi_u32 v3, 0x97b425f, v0
	s_wait_alu 0xfffe
	s_add_nc_u64 s[2:3], s[10:11], s[2:3]
	s_load_b64 s[6:7], s[0:1], 0x20
	s_load_b64 s[2:3], s[2:3], 0x0
	v_and_b32_e32 v4, 1, v9
	s_delay_alu instid0(VALU_DEP_2) | instskip(NEXT) | instid1(VALU_DEP_2)
	v_mul_u32_u24_e32 v3, 27, v3
	v_cmp_eq_u32_e64 s0, 1, v4
	s_delay_alu instid0(VALU_DEP_2) | instskip(NEXT) | instid1(VALU_DEP_1)
	v_sub_nc_u32_e32 v72, v0, v3
	v_add_nc_u32_e32 v79, 27, v72
	v_add_nc_u32_e32 v83, 54, v72
	;; [unrolled: 1-line block ×4, first 2 shown]
	s_wait_kmcnt 0x0
	v_cmp_gt_u64_e32 vcc_lo, s[6:7], v[7:8]
	v_mul_lo_u32 v3, s2, v8
	v_mul_lo_u32 v5, s3, v7
	v_mad_co_u64_u32 v[0:1], null, s2, v7, v[1:2]
	v_cmp_le_u64_e64 s1, s[6:7], v[7:8]
	v_add_nc_u32_e32 v76, 0x87, v72
	s_delay_alu instid0(VALU_DEP_3) | instskip(NEXT) | instid1(VALU_DEP_3)
	v_add3_u32 v1, v5, v1, v3
	s_and_saveexec_b32 s2, s1
	s_wait_alu 0xfffe
	s_xor_b32 s1, exec_lo, s2
; %bb.10:
	v_add_nc_u32_e32 v79, 27, v72
	v_add_nc_u32_e32 v83, 54, v72
	;; [unrolled: 1-line block ×5, first 2 shown]
; %bb.11:
	s_wait_alu 0xfffe
	s_or_saveexec_b32 s1, s1
	v_cndmask_b32_e64 v2, 0, 0x1b1, s0
	v_lshlrev_b64_e32 v[74:75], 4, v[0:1]
	v_lshlrev_b32_e32 v77, 4, v72
	s_delay_alu instid0(VALU_DEP_3)
	v_lshlrev_b32_e32 v80, 4, v2
	s_wait_alu 0xfffe
	s_xor_b32 exec_lo, exec_lo, s1
	s_cbranch_execz .LBB0_13
; %bb.12:
	v_mov_b32_e32 v73, 0
	v_add_co_u32 v2, s0, s8, v74
	s_wait_alu 0xf1ff
	v_add_co_ci_u32_e64 v3, s0, s9, v75, s0
	s_delay_alu instid0(VALU_DEP_3) | instskip(SKIP_1) | instid1(VALU_DEP_2)
	v_lshlrev_b64_e32 v[0:1], 4, v[72:73]
	v_add3_u32 v64, 0, v80, v77
	v_add_co_u32 v60, s0, v2, v0
	s_wait_alu 0xf1ff
	s_delay_alu instid0(VALU_DEP_3)
	v_add_co_ci_u32_e64 v61, s0, v3, v1, s0
	s_clause 0xf
	global_load_b128 v[0:3], v[60:61], off
	global_load_b128 v[4:7], v[60:61], off offset:432
	global_load_b128 v[8:11], v[60:61], off offset:864
	;; [unrolled: 1-line block ×15, first 2 shown]
	s_wait_loadcnt 0xf
	ds_store_b128 v64, v[0:3]
	s_wait_loadcnt 0xe
	ds_store_b128 v64, v[4:7] offset:432
	s_wait_loadcnt 0xd
	ds_store_b128 v64, v[8:11] offset:864
	;; [unrolled: 2-line block ×15, first 2 shown]
.LBB0_13:
	s_or_b32 exec_lo, exec_lo, s1
	v_add_nc_u32_e32 v0, 0, v77
	global_wb scope:SCOPE_SE
	s_wait_dscnt 0x0
	s_barrier_signal -1
	s_barrier_wait -1
	global_inv scope:SCOPE_SE
	v_add_nc_u32_e32 v73, v0, v80
	v_add_nc_u32_e32 v89, 0, v80
	s_mov_b32 s0, 0xe8584caa
	s_mov_b32 s1, 0xbfebb67a
	;; [unrolled: 1-line block ×3, first 2 shown]
	ds_load_b128 v[0:3], v73 offset:4608
	ds_load_b128 v[4:7], v73 offset:2304
	;; [unrolled: 1-line block ×12, first 2 shown]
	v_add_nc_u32_e32 v88, v89, v77
	ds_load_b128 v[64:67], v73 offset:1296
	ds_load_b128 v[68:71], v73 offset:1728
	;; [unrolled: 1-line block ×5, first 2 shown]
	ds_load_b128 v[52:55], v88
	s_wait_alu 0xfffe
	s_mov_b32 s2, s0
	v_mad_i32_i24 v82, v79, 48, v89
	global_wb scope:SCOPE_SE
	s_wait_dscnt 0x0
	v_add_f64_e32 v[84:85], v[4:5], v[0:1]
	v_add_f64_e32 v[86:87], v[6:7], v[2:3]
	;; [unrolled: 1-line block ×18, first 2 shown]
	v_add_f64_e64 v[6:7], v[6:7], -v[2:3]
	v_add_f64_e64 v[4:5], v[4:5], -v[0:1]
	;; [unrolled: 1-line block ×4, first 2 shown]
	v_add_f64_e32 v[114:115], v[56:57], v[20:21]
	v_add_f64_e32 v[116:117], v[58:59], v[22:23]
	v_add_f64_e64 v[20:21], v[20:21], -v[24:25]
	v_add_f64_e32 v[118:119], v[60:61], v[32:33]
	v_add_f64_e32 v[120:121], v[62:63], v[34:35]
	v_add_f64_e64 v[130:131], v[36:37], -v[40:41]
	v_add_f64_e64 v[132:133], v[50:51], -v[46:47]
	;; [unrolled: 1-line block ×3, first 2 shown]
	s_barrier_signal -1
	s_barrier_wait -1
	global_inv scope:SCOPE_SE
	v_fma_f64 v[52:53], v[84:85], -0.5, v[52:53]
	v_fma_f64 v[54:55], v[86:87], -0.5, v[54:55]
	v_add_f64_e64 v[84:85], v[22:23], -v[26:27]
	v_fma_f64 v[56:57], v[90:91], -0.5, v[56:57]
	v_fma_f64 v[58:59], v[92:93], -0.5, v[58:59]
	v_add_f64_e64 v[86:87], v[34:35], -v[30:31]
	v_fma_f64 v[90:91], v[94:95], -0.5, v[60:61]
	v_add_f64_e64 v[92:93], v[32:33], -v[28:29]
	v_fma_f64 v[94:95], v[96:97], -0.5, v[62:63]
	v_fma_f64 v[106:107], v[106:107], -0.5, v[16:17]
	;; [unrolled: 1-line block ×3, first 2 shown]
	v_add_f64_e64 v[96:97], v[38:39], -v[42:43]
	v_fma_f64 v[98:99], v[98:99], -0.5, v[64:65]
	v_fma_f64 v[100:101], v[100:101], -0.5, v[66:67]
	;; [unrolled: 1-line block ×4, first 2 shown]
	v_add_f64_e32 v[32:33], v[110:111], v[0:1]
	v_add_f64_e32 v[34:35], v[112:113], v[2:3]
	v_add_f64_e32 v[36:37], v[122:123], v[40:41]
	v_add_f64_e32 v[38:39], v[124:125], v[42:43]
	v_add_f64_e32 v[40:41], v[126:127], v[44:45]
	v_add_f64_e32 v[42:43], v[128:129], v[46:47]
	v_add_f64_e32 v[23:24], v[114:115], v[24:25]
	v_add_f64_e32 v[25:26], v[116:117], v[26:27]
	v_mad_i32_i24 v22, v78, 48, 0
	v_add_f64_e32 v[27:28], v[118:119], v[28:29]
	v_add_f64_e32 v[29:30], v[120:121], v[30:31]
	v_mad_u32_u24 v31, v72, 48, v89
	v_fma_f64 v[44:45], v[6:7], s[0:1], v[52:53]
	s_wait_alu 0xfffe
	v_fma_f64 v[48:49], v[6:7], s[2:3], v[52:53]
	v_fma_f64 v[46:47], v[4:5], s[2:3], v[54:55]
	;; [unrolled: 1-line block ×23, first 2 shown]
	v_mad_i32_i24 v20, v83, 48, 0
	v_mad_i32_i24 v21, v81, 48, 0
	v_cmp_gt_u32_e64 s0, 9, v72
	v_add_nc_u32_e32 v100, v22, v80
	s_delay_alu instid0(VALU_DEP_4) | instskip(NEXT) | instid1(VALU_DEP_4)
	v_add_nc_u32_e32 v98, v20, v80
	v_add_nc_u32_e32 v99, v21, v80
	ds_store_b128 v31, v[32:35]
	ds_store_b128 v31, v[44:47] offset:16
	ds_store_b128 v31, v[48:51] offset:32
	ds_store_b128 v82, v[23:26]
	ds_store_b128 v82, v[52:55] offset:16
	ds_store_b128 v82, v[56:59] offset:32
	;; [unrolled: 3-line block ×5, first 2 shown]
	s_and_saveexec_b32 s1, s0
	s_cbranch_execz .LBB0_15
; %bb.14:
	v_add_f64_e32 v[14:15], v[18:19], v[14:15]
	v_add_f64_e32 v[12:13], v[16:17], v[12:13]
	s_delay_alu instid0(VALU_DEP_2) | instskip(NEXT) | instid1(VALU_DEP_2)
	v_add_f64_e32 v[10:11], v[14:15], v[10:11]
	v_add_f64_e32 v[8:9], v[12:13], v[8:9]
	v_mul_i32_i24_e32 v12, 48, v76
	s_delay_alu instid0(VALU_DEP_1)
	v_add3_u32 v12, 0, v12, v80
	ds_store_b128 v12, v[8:11]
	ds_store_b128 v12, v[4:7] offset:16
	ds_store_b128 v12, v[0:3] offset:32
.LBB0_15:
	s_wait_alu 0xfffe
	s_or_b32 exec_lo, exec_lo, s1
	v_and_b32_e32 v8, 0xff, v72
	global_wb scope:SCOPE_SE
	s_wait_dscnt 0x0
	s_barrier_signal -1
	s_barrier_wait -1
	global_inv scope:SCOPE_SE
	v_mul_lo_u16 v8, 0xab, v8
	v_lshlrev_b32_e32 v19, 4, v79
	v_lshlrev_b32_e32 v71, 4, v76
	s_mov_b32 s2, 0x667f3bcd
	s_mov_b32 s3, 0xbfe6a09e
	v_lshrrev_b16 v13, 9, v8
	v_add3_u32 v92, 0, v19, v80
	v_lshlrev_b32_e32 v19, 5, v78
	v_add3_u32 v86, 0, v71, v80
	s_mov_b32 s7, 0x3fe6a09e
	v_mul_lo_u16 v8, v13, 3
	s_wait_alu 0xfffe
	s_mov_b32 s6, s2
	v_sub_nc_u32_e32 v22, v22, v19
	s_mov_b32 s10, 0xcf328d46
	s_mov_b32 s11, 0xbfed906b
	v_sub_nc_u16 v8, v72, v8
	s_mov_b32 s17, 0x3fed906b
	v_add_nc_u32_e32 v82, v22, v80
	s_mov_b32 s16, s10
	s_mov_b32 s12, 0xa6aea964
	v_and_b32_e32 v12, 0xff, v8
	s_mov_b32 s13, 0x3fd87de2
	s_mov_b32 s15, 0xbfd87de2
	;; [unrolled: 1-line block ×3, first 2 shown]
	v_and_b32_e32 v13, 0xffff, v13
	v_mul_u32_u24_e32 v8, 15, v12
	s_delay_alu instid0(VALU_DEP_2) | instskip(NEXT) | instid1(VALU_DEP_2)
	v_mul_u32_u24_e32 v13, 48, v13
	v_lshlrev_b32_e32 v18, 4, v8
	s_clause 0xe
	global_load_b128 v[8:11], v18, s[4:5]
	global_load_b128 v[14:17], v18, s[4:5] offset:16
	global_load_b128 v[23:26], v18, s[4:5] offset:32
	;; [unrolled: 1-line block ×14, first 2 shown]
	v_lshlrev_b32_e32 v18, 5, v83
	v_or_b32_e32 v12, v13, v12
	s_delay_alu instid0(VALU_DEP_2) | instskip(NEXT) | instid1(VALU_DEP_2)
	v_sub_nc_u32_e32 v18, v20, v18
	v_lshlrev_b32_e32 v12, 4, v12
	s_delay_alu instid0(VALU_DEP_2) | instskip(SKIP_1) | instid1(VALU_DEP_3)
	v_add_nc_u32_e32 v90, v18, v80
	v_lshlrev_b32_e32 v18, 5, v81
	v_add3_u32 v12, 0, v12, v80
	ds_load_b128 v[97:100], v92
	ds_load_b128 v[101:104], v90
	v_sub_nc_u32_e32 v18, v21, v18
	s_delay_alu instid0(VALU_DEP_1)
	v_add_nc_u32_e32 v91, v18, v80
	ds_load_b128 v[18:21], v73 offset:6480
	ds_load_b128 v[105:108], v91
	ds_load_b128 v[109:112], v82
	;; [unrolled: 1-line block ×3, first 2 shown]
	ds_load_b128 v[117:120], v73 offset:2592
	ds_load_b128 v[121:124], v73 offset:3024
	;; [unrolled: 1-line block ×3, first 2 shown]
	s_wait_loadcnt_dscnt 0xe08
	v_mul_f64_e32 v[84:85], v[99:100], v[10:11]
	v_mul_f64_e32 v[10:11], v[97:98], v[10:11]
	s_wait_loadcnt_dscnt 0xd07
	v_mul_f64_e32 v[129:130], v[103:104], v[16:17]
	v_mul_f64_e32 v[16:17], v[101:102], v[16:17]
	;; [unrolled: 3-line block ×7, first 2 shown]
	v_fma_f64 v[84:85], v[97:98], v[8:9], v[84:85]
	v_fma_f64 v[137:138], v[99:100], v[8:9], -v[10:11]
	ds_load_b128 v[8:11], v88
	v_fma_f64 v[101:102], v[101:102], v[14:15], v[129:130]
	v_fma_f64 v[103:104], v[103:104], v[14:15], -v[16:17]
	ds_load_b128 v[14:17], v73 offset:5184
	v_mul_f64_e32 v[129:130], v[123:124], v[41:42]
	v_mul_f64_e32 v[41:42], v[121:122], v[41:42]
	v_fma_f64 v[105:106], v[105:106], v[23:24], v[131:132]
	v_fma_f64 v[107:108], v[107:108], v[23:24], -v[25:26]
	ds_load_b128 v[22:25], v73 offset:4752
	v_fma_f64 v[109:110], v[109:110], v[27:28], v[133:134]
	v_fma_f64 v[111:112], v[111:112], v[27:28], -v[29:30]
	ds_load_b128 v[26:29], v73 offset:4320
	v_fma_f64 v[113:114], v[113:114], v[31:32], v[135:136]
	v_fma_f64 v[115:116], v[115:116], v[31:32], -v[33:34]
	ds_load_b128 v[30:33], v73 offset:6048
	ds_load_b128 v[97:100], v73 offset:3888
	v_fma_f64 v[117:118], v[117:118], v[35:36], v[139:140]
	v_fma_f64 v[119:120], v[119:120], v[35:36], -v[37:38]
	ds_load_b128 v[34:37], v73 offset:5616
	v_fma_f64 v[125:126], v[125:126], v[43:44], v[141:142]
	global_wb scope:SCOPE_SE
	s_wait_loadcnt_dscnt 0x0
	s_barrier_signal -1
	s_barrier_wait -1
	global_inv scope:SCOPE_SE
	v_mul_f64_e32 v[131:132], v[16:17], v[49:50]
	v_mul_f64_e32 v[49:50], v[14:15], v[49:50]
	;; [unrolled: 1-line block ×5, first 2 shown]
	v_fma_f64 v[121:122], v[121:122], v[39:40], v[129:130]
	v_fma_f64 v[38:39], v[123:124], v[39:40], -v[41:42]
	v_mul_f64_e32 v[40:41], v[30:31], v[57:58]
	v_mul_f64_e32 v[57:58], v[99:100], v[61:62]
	;; [unrolled: 1-line block ×4, first 2 shown]
	v_fma_f64 v[42:43], v[127:128], v[43:44], -v[45:46]
	v_mul_f64_e32 v[44:45], v[36:37], v[69:70]
	v_mul_f64_e32 v[69:70], v[34:35], v[69:70]
	;; [unrolled: 1-line block ×4, first 2 shown]
	v_fma_f64 v[14:15], v[14:15], v[47:48], v[131:132]
	v_fma_f64 v[16:17], v[16:17], v[47:48], -v[49:50]
	v_mul_f64_e32 v[46:47], v[20:21], v[95:96]
	v_fma_f64 v[26:27], v[26:27], v[51:52], v[133:134]
	v_fma_f64 v[28:29], v[28:29], v[51:52], -v[53:54]
	v_fma_f64 v[30:31], v[30:31], v[55:56], v[135:136]
	v_fma_f64 v[32:33], v[32:33], v[55:56], -v[40:41]
	;; [unrolled: 2-line block ×3, first 2 shown]
	v_fma_f64 v[22:23], v[22:23], v[63:64], v[123:124]
	v_add_f64_e64 v[42:43], v[10:11], -v[42:43]
	v_fma_f64 v[34:35], v[34:35], v[67:68], v[44:45]
	v_fma_f64 v[36:37], v[36:37], v[67:68], -v[69:70]
	v_fma_f64 v[24:25], v[24:25], v[63:64], -v[65:66]
	;; [unrolled: 1-line block ×3, first 2 shown]
	v_add_f64_e64 v[44:45], v[8:9], -v[125:126]
	v_add_f64_e64 v[14:15], v[109:110], -v[14:15]
	;; [unrolled: 1-line block ×3, first 2 shown]
	v_fma_f64 v[18:19], v[18:19], v[93:94], v[46:47]
	v_add_f64_e64 v[26:27], v[101:102], -v[26:27]
	v_add_f64_e64 v[28:29], v[103:104], -v[28:29]
	v_add_f64_e64 v[30:31], v[117:118], -v[30:31]
	v_add_f64_e64 v[32:33], v[119:120], -v[32:33]
	v_add_f64_e64 v[40:41], v[84:85], -v[40:41]
	v_add_f64_e64 v[46:47], v[137:138], -v[48:49]
	v_add_f64_e64 v[22:23], v[105:106], -v[22:23]
	v_fma_f64 v[10:11], v[10:11], 2.0, -v[42:43]
	v_add_f64_e64 v[34:35], v[113:114], -v[34:35]
	v_add_f64_e64 v[36:37], v[115:116], -v[36:37]
	;; [unrolled: 1-line block ×4, first 2 shown]
	v_fma_f64 v[8:9], v[8:9], 2.0, -v[44:45]
	v_add_f64_e64 v[50:51], v[42:43], -v[14:15]
	v_add_f64_e32 v[48:49], v[44:45], v[16:17]
	v_add_f64_e64 v[18:19], v[121:122], -v[18:19]
	v_fma_f64 v[14:15], v[109:110], 2.0, -v[14:15]
	v_fma_f64 v[16:17], v[111:112], 2.0, -v[16:17]
	;; [unrolled: 1-line block ×4, first 2 shown]
	v_add_f64_e64 v[54:55], v[28:29], -v[30:31]
	v_fma_f64 v[30:31], v[117:118], 2.0, -v[30:31]
	v_add_f64_e32 v[52:53], v[26:27], v[32:33]
	v_fma_f64 v[32:33], v[119:120], 2.0, -v[32:33]
	v_fma_f64 v[68:69], v[84:85], 2.0, -v[40:41]
	;; [unrolled: 1-line block ×4, first 2 shown]
	v_add_f64_e64 v[58:59], v[46:47], -v[34:35]
	v_add_f64_e32 v[56:57], v[40:41], v[36:37]
	v_fma_f64 v[34:35], v[113:114], 2.0, -v[34:35]
	v_add_f64_e32 v[60:61], v[22:23], v[20:21]
	v_fma_f64 v[36:37], v[115:116], 2.0, -v[36:37]
	v_fma_f64 v[93:94], v[107:108], 2.0, -v[24:25]
	;; [unrolled: 1-line block ×5, first 2 shown]
	v_add_f64_e64 v[62:63], v[24:25], -v[18:19]
	v_fma_f64 v[18:19], v[121:122], 2.0, -v[18:19]
	v_add_f64_e64 v[14:15], v[8:9], -v[14:15]
	v_add_f64_e64 v[16:17], v[10:11], -v[16:17]
	v_fma_f64 v[28:29], v[28:29], 2.0, -v[54:55]
	v_add_f64_e64 v[30:31], v[64:65], -v[30:31]
	s_wait_alu 0xfffe
	v_fma_f64 v[95:96], v[54:55], s[6:7], v[50:51]
	v_fma_f64 v[26:27], v[26:27], 2.0, -v[52:53]
	v_add_f64_e64 v[32:33], v[66:67], -v[32:33]
	v_fma_f64 v[44:45], v[46:47], 2.0, -v[58:59]
	v_fma_f64 v[40:41], v[40:41], 2.0, -v[56:57]
	v_add_f64_e64 v[34:35], v[68:69], -v[34:35]
	v_fma_f64 v[22:23], v[22:23], 2.0, -v[60:61]
	v_add_f64_e64 v[36:37], v[70:71], -v[36:37]
	v_fma_f64 v[46:47], v[52:53], s[6:7], v[48:49]
	v_add_f64_e64 v[20:21], v[93:94], -v[20:21]
	v_fma_f64 v[97:98], v[60:61], s[6:7], v[56:57]
	v_fma_f64 v[24:25], v[24:25], 2.0, -v[62:63]
	v_add_f64_e64 v[18:19], v[84:85], -v[18:19]
	v_fma_f64 v[99:100], v[62:63], s[6:7], v[58:59]
	v_fma_f64 v[8:9], v[8:9], 2.0, -v[14:15]
	v_fma_f64 v[10:11], v[10:11], 2.0, -v[16:17]
	v_fma_f64 v[103:104], v[28:29], s[2:3], v[42:43]
	v_fma_f64 v[64:65], v[64:65], 2.0, -v[30:31]
	v_add_f64_e64 v[111:112], v[16:17], -v[30:31]
	v_fma_f64 v[52:53], v[52:53], s[2:3], v[95:96]
	v_fma_f64 v[101:102], v[26:27], s[2:3], v[38:39]
	v_fma_f64 v[66:67], v[66:67], 2.0, -v[32:33]
	v_add_f64_e32 v[109:110], v[14:15], v[32:33]
	v_fma_f64 v[68:69], v[68:69], 2.0, -v[34:35]
	v_fma_f64 v[105:106], v[22:23], s[2:3], v[40:41]
	v_fma_f64 v[70:71], v[70:71], 2.0, -v[36:37]
	v_fma_f64 v[46:47], v[54:55], s[6:7], v[46:47]
	v_add_f64_e32 v[30:31], v[34:35], v[20:21]
	v_fma_f64 v[54:55], v[62:63], s[6:7], v[97:98]
	v_fma_f64 v[20:21], v[93:94], 2.0, -v[20:21]
	v_fma_f64 v[107:108], v[24:25], s[2:3], v[44:45]
	v_add_f64_e64 v[32:33], v[36:37], -v[18:19]
	v_fma_f64 v[60:61], v[60:61], s[2:3], v[99:100]
	v_fma_f64 v[18:19], v[84:85], 2.0, -v[18:19]
	v_fma_f64 v[84:85], v[26:27], s[2:3], v[103:104]
	v_add_f64_e64 v[64:65], v[8:9], -v[64:65]
	v_fma_f64 v[99:100], v[16:17], 2.0, -v[111:112]
	v_fma_f64 v[103:104], v[50:51], 2.0, -v[52:53]
	v_fma_f64 v[62:63], v[28:29], s[6:7], v[101:102]
	v_add_f64_e64 v[66:67], v[10:11], -v[66:67]
	v_fma_f64 v[97:98], v[14:15], 2.0, -v[109:110]
	v_fma_f64 v[93:94], v[24:25], s[6:7], v[105:106]
	v_fma_f64 v[101:102], v[48:49], 2.0, -v[46:47]
	v_fma_f64 v[24:25], v[34:35], 2.0, -v[30:31]
	;; [unrolled: 1-line block ×3, first 2 shown]
	v_fma_f64 v[14:15], v[30:31], s[6:7], v[109:110]
	v_fma_f64 v[95:96], v[22:23], s[2:3], v[107:108]
	v_fma_f64 v[22:23], v[36:37], 2.0, -v[32:33]
	v_fma_f64 v[26:27], v[58:59], 2.0, -v[60:61]
	v_add_f64_e64 v[34:35], v[68:69], -v[18:19]
	v_add_f64_e64 v[18:19], v[70:71], -v[20:21]
	v_fma_f64 v[16:17], v[32:33], s[6:7], v[111:112]
	v_fma_f64 v[20:21], v[54:55], s[16:17], v[46:47]
	;; [unrolled: 1-line block ×3, first 2 shown]
	v_fma_f64 v[107:108], v[42:43], 2.0, -v[84:85]
	v_fma_f64 v[113:114], v[8:9], 2.0, -v[64:65]
	;; [unrolled: 1-line block ×5, first 2 shown]
	v_fma_f64 v[56:57], v[93:94], s[12:13], v[62:63]
	v_fma_f64 v[42:43], v[24:25], s[2:3], v[97:98]
	;; [unrolled: 1-line block ×4, first 2 shown]
	v_fma_f64 v[38:39], v[44:45], 2.0, -v[95:96]
	v_fma_f64 v[44:45], v[22:23], s[2:3], v[99:100]
	v_fma_f64 v[50:51], v[26:27], s[14:15], v[103:104]
	;; [unrolled: 1-line block ×3, first 2 shown]
	v_fma_f64 v[68:69], v[68:69], 2.0, -v[34:35]
	v_fma_f64 v[70:71], v[70:71], 2.0, -v[18:19]
	v_fma_f64 v[16:17], v[30:31], s[2:3], v[16:17]
	v_fma_f64 v[8:9], v[60:61], s[12:13], v[20:21]
	;; [unrolled: 1-line block ×3, first 2 shown]
	v_add_f64_e32 v[18:19], v[64:65], v[18:19]
	v_add_f64_e64 v[20:21], v[66:67], -v[34:35]
	v_fma_f64 v[117:118], v[40:41], s[10:11], v[105:106]
	v_fma_f64 v[30:31], v[95:96], s[16:17], v[56:57]
	;; [unrolled: 1-line block ×4, first 2 shown]
	v_fma_f64 v[42:43], v[109:110], 2.0, -v[14:15]
	v_fma_f64 v[119:120], v[38:39], s[10:11], v[107:108]
	v_fma_f64 v[24:25], v[24:25], s[2:3], v[44:45]
	;; [unrolled: 1-line block ×4, first 2 shown]
	v_add_f64_e64 v[34:35], v[113:114], -v[68:69]
	v_add_f64_e64 v[36:37], v[115:116], -v[70:71]
	v_fma_f64 v[44:45], v[111:112], 2.0, -v[16:17]
	v_fma_f64 v[46:47], v[46:47], 2.0, -v[8:9]
	;; [unrolled: 1-line block ×5, first 2 shown]
	v_fma_f64 v[38:39], v[38:39], s[12:13], v[117:118]
	v_fma_f64 v[62:63], v[62:63], 2.0, -v[30:31]
	v_fma_f64 v[54:55], v[97:98], 2.0, -v[22:23]
	;; [unrolled: 1-line block ×3, first 2 shown]
	v_fma_f64 v[40:41], v[40:41], s[14:15], v[119:120]
	v_fma_f64 v[56:57], v[99:100], 2.0, -v[24:25]
	v_fma_f64 v[60:61], v[103:104], 2.0, -v[28:29]
	;; [unrolled: 1-line block ×7, first 2 shown]
	ds_store_b128 v12, v[14:17] offset:672
	ds_store_b128 v12, v[8:11] offset:720
	ds_store_b128 v12, v[42:45] offset:288
	ds_store_b128 v12, v[46:49] offset:336
	ds_store_b128 v12, v[22:25] offset:480
	ds_store_b128 v12, v[26:29] offset:528
	ds_store_b128 v12, v[18:21] offset:576
	ds_store_b128 v12, v[30:33] offset:624
	ds_store_b128 v12, v[54:57] offset:96
	ds_store_b128 v12, v[58:61] offset:144
	ds_store_b128 v12, v[50:53] offset:192
	ds_store_b128 v12, v[62:65] offset:240
	ds_store_b128 v12, v[34:37] offset:384
	ds_store_b128 v12, v[38:41] offset:432
	ds_store_b128 v12, v[66:69]
	ds_store_b128 v12, v[93:96] offset:48
	global_wb scope:SCOPE_SE
	s_wait_dscnt 0x0
	s_barrier_signal -1
	s_barrier_wait -1
	global_inv scope:SCOPE_SE
	ds_load_b128 v[20:23], v88
	ds_load_b128 v[68:71], v73 offset:2304
	ds_load_b128 v[60:63], v73 offset:4608
	;; [unrolled: 1-line block ×5, first 2 shown]
	ds_load_b128 v[24:27], v90
	ds_load_b128 v[12:15], v91
	ds_load_b128 v[56:59], v73 offset:5472
	ds_load_b128 v[32:35], v73 offset:5904
	ds_load_b128 v[16:19], v82
	ds_load_b128 v[44:47], v73 offset:3600
	ds_load_b128 v[36:39], v73 offset:4032
	ds_load_b128 v[28:31], v92
	ds_load_b128 v[40:43], v73 offset:6336
	s_and_saveexec_b32 s1, s0
	s_cbranch_execz .LBB0_17
; %bb.16:
	ds_load_b128 v[8:11], v86
	ds_load_b128 v[4:7], v73 offset:4464
	ds_load_b128 v[0:3], v73 offset:6768
.LBB0_17:
	s_wait_alu 0xfffe
	s_or_b32 exec_lo, exec_lo, s1
	v_dual_mov_b32 v106, 0 :: v_dual_lshlrev_b32 v105, 1, v72
	v_and_b32_e32 v93, 0xff, v81
	v_subrev_nc_u32_e32 v87, 21, v72
	v_and_b32_e32 v118, 0xff, v78
	v_and_b32_e32 v119, 0xff, v76
	v_lshlrev_b64_e32 v[84:85], 4, v[105:106]
	v_dual_mov_b32 v110, v106 :: v_dual_add_nc_u32 v105, 12, v105
	v_mul_lo_u16 v93, 0xab, v93
	s_mov_b32 s2, 0xe8584caa
	s_mov_b32 s3, 0xbfebb67a
	s_delay_alu instid0(VALU_DEP_3)
	v_add_co_u32 v84, s1, s4, v84
	s_wait_alu 0xf1ff
	v_add_co_ci_u32_e64 v85, s1, s5, v85, s1
	v_lshlrev_b64_e32 v[102:103], 4, v[105:106]
	v_lshrrev_b16 v152, 13, v93
	s_clause 0x1
	global_load_b128 v[94:97], v[84:85], off offset:720
	global_load_b128 v[98:101], v[84:85], off offset:736
	v_mul_lo_u16 v93, 0xab, v118
	v_mul_lo_u16 v118, 0xab, v119
	v_add_co_u32 v107, s1, s4, v102
	s_wait_alu 0xf1ff
	v_add_co_ci_u32_e64 v108, s1, s5, v103, s1
	v_cmp_gt_u32_e64 s1, 21, v72
	v_mul_lo_u16 v119, v152, 48
	v_lshrrev_b16 v93, 13, v93
	global_load_b128 v[102:105], v[107:108], off offset:720
	v_lshrrev_b16 v118, 13, v118
	s_wait_alu 0xf1ff
	v_cndmask_b32_e64 v87, v87, v79, s1
	v_sub_nc_u16 v119, v81, v119
	v_mul_lo_u16 v93, v93, 48
	s_mov_b32 s7, 0x3febb67a
	v_mul_lo_u16 v118, v118, 48
	v_lshlrev_b32_e32 v109, 1, v87
	v_and_b32_e32 v153, 0xff, v119
	v_sub_nc_u16 v93, v78, v93
	s_wait_alu 0xfffe
	s_mov_b32 s6, s2
	v_sub_nc_u16 v118, v76, v118
	v_lshlrev_b64_e32 v[110:111], 4, v[109:110]
	v_lshlrev_b32_e32 v122, 5, v153
	v_and_b32_e32 v154, 0xff, v93
	v_lshlrev_b32_e32 v87, 4, v87
	v_and_b32_e32 v93, 0xff, v118
	global_load_b128 v[118:121], v122, s[4:5] offset:720
	v_add_co_u32 v114, s1, s4, v110
	s_wait_alu 0xf1ff
	v_add_co_ci_u32_e64 v115, s1, s5, v111, s1
	global_load_b128 v[106:109], v[107:108], off offset:736
	v_lshlrev_b32_e32 v130, 5, v154
	v_lshlrev_b32_e32 v140, 5, v93
	s_clause 0x4
	global_load_b128 v[110:113], v[114:115], off offset:720
	global_load_b128 v[114:117], v[114:115], off offset:736
	global_load_b128 v[122:125], v122, s[4:5] offset:736
	global_load_b128 v[126:129], v130, s[4:5] offset:720
	global_load_b128 v[130:133], v130, s[4:5] offset:736
	v_cmp_lt_u32_e64 s1, 20, v72
	s_wait_loadcnt_dscnt 0x90d
	v_mul_f64_e32 v[134:135], v[70:71], v[96:97]
	v_mul_f64_e32 v[96:97], v[68:69], v[96:97]
	s_delay_alu instid0(VALU_DEP_2)
	v_fma_f64 v[138:139], v[68:69], v[94:95], v[134:135]
	global_load_b128 v[134:137], v140, s[4:5] offset:720
	v_fma_f64 v[94:95], v[70:71], v[94:95], -v[96:97]
	global_load_b128 v[68:71], v140, s[4:5] offset:736
	s_wait_loadcnt_dscnt 0xa0c
	v_mul_f64_e32 v[96:97], v[62:63], v[100:101]
	v_mul_f64_e32 v[100:101], v[60:61], v[100:101]
	global_wb scope:SCOPE_SE
	s_wait_loadcnt_dscnt 0x0
	s_barrier_signal -1
	s_barrier_wait -1
	global_inv scope:SCOPE_SE
	v_fma_f64 v[60:61], v[60:61], v[98:99], v[96:97]
	v_fma_f64 v[62:63], v[62:63], v[98:99], -v[100:101]
	v_mul_f64_e32 v[96:97], v[66:67], v[104:105]
	v_mul_f64_e32 v[98:99], v[64:65], v[104:105]
	;; [unrolled: 1-line block ×5, first 2 shown]
	v_fma_f64 v[64:65], v[64:65], v[102:103], v[96:97]
	v_fma_f64 v[66:67], v[66:67], v[102:103], -v[98:99]
	v_mul_f64_e32 v[102:103], v[50:51], v[116:117]
	v_mul_f64_e32 v[96:97], v[54:55], v[112:113]
	;; [unrolled: 1-line block ×3, first 2 shown]
	v_fma_f64 v[50:51], v[50:51], v[114:115], -v[108:109]
	v_fma_f64 v[56:57], v[56:57], v[106:107], v[100:101]
	v_fma_f64 v[58:59], v[58:59], v[106:107], -v[104:105]
	v_mul_f64_e32 v[100:101], v[46:47], v[120:121]
	v_mul_f64_e32 v[104:105], v[44:45], v[120:121]
	;; [unrolled: 1-line block ×5, first 2 shown]
	v_add_f64_e64 v[120:121], v[138:139], -v[60:61]
	v_add_f64_e32 v[124:125], v[24:25], v[64:65]
	v_fma_f64 v[48:49], v[48:49], v[114:115], v[102:103]
	v_fma_f64 v[52:53], v[52:53], v[110:111], v[96:97]
	v_fma_f64 v[54:55], v[54:55], v[110:111], -v[98:99]
	v_mul_f64_e32 v[96:97], v[38:39], v[128:129]
	v_mul_f64_e32 v[98:99], v[36:37], v[128:129]
	v_mul_f64_e32 v[110:111], v[42:43], v[132:133]
	v_fma_f64 v[44:45], v[44:45], v[118:119], v[100:101]
	v_fma_f64 v[46:47], v[46:47], v[118:119], -v[104:105]
	v_fma_f64 v[32:33], v[32:33], v[122:123], v[106:107]
	v_fma_f64 v[34:35], v[34:35], v[122:123], -v[112:113]
	v_fma_f64 v[42:43], v[42:43], v[130:131], -v[116:117]
	v_add_f64_e32 v[116:117], v[20:21], v[138:139]
	v_add_f64_e32 v[118:119], v[22:23], v[94:95]
	;; [unrolled: 1-line block ×5, first 2 shown]
	v_fma_f64 v[36:37], v[36:37], v[126:127], v[96:97]
	v_fma_f64 v[38:39], v[38:39], v[126:127], -v[98:99]
	v_fma_f64 v[40:41], v[40:41], v[130:131], v[110:111]
	v_add_f64_e32 v[96:97], v[64:65], v[56:57]
	v_add_f64_e32 v[98:99], v[66:67], v[58:59]
	;; [unrolled: 1-line block ×7, first 2 shown]
	v_add_f64_e64 v[142:143], v[52:53], -v[48:49]
	v_add_f64_e64 v[66:67], v[66:67], -v[58:59]
	;; [unrolled: 1-line block ×4, first 2 shown]
	v_fma_f64 v[52:53], v[100:101], -0.5, v[28:29]
	v_add_f64_e64 v[100:101], v[46:47], -v[34:35]
	v_add_f64_e32 v[110:111], v[38:39], v[42:43]
	v_add_f64_e64 v[146:147], v[38:39], -v[42:43]
	v_fma_f64 v[96:97], v[96:97], -0.5, v[24:25]
	v_fma_f64 v[98:99], v[98:99], -0.5, v[26:27]
	;; [unrolled: 1-line block ×4, first 2 shown]
	v_add_f64_e64 v[148:149], v[36:37], -v[40:41]
	v_add_f64_e32 v[14:15], v[118:119], v[62:63]
	v_add_f64_e32 v[12:13], v[116:117], v[60:61]
	;; [unrolled: 1-line block ×4, first 2 shown]
	v_fma_f64 v[110:111], v[110:111], -0.5, v[18:19]
	s_wait_alu 0xfffe
	v_fma_f64 v[44:45], v[66:67], s[6:7], v[96:97]
	v_fma_f64 v[46:47], v[64:65], s[2:3], v[98:99]
	v_mul_f64_e32 v[102:103], v[6:7], v[136:137]
	v_mul_f64_e32 v[108:109], v[4:5], v[136:137]
	;; [unrolled: 1-line block ×4, first 2 shown]
	v_add_f64_e32 v[136:137], v[18:19], v[38:39]
	v_add_f64_e32 v[18:19], v[122:123], v[58:59]
	v_fma_f64 v[58:59], v[144:145], s[6:7], v[106:107]
	v_fma_f64 v[4:5], v[4:5], v[134:135], v[102:103]
	v_fma_f64 v[6:7], v[6:7], v[134:135], -v[108:109]
	v_fma_f64 v[0:1], v[0:1], v[68:69], v[114:115]
	v_fma_f64 v[2:3], v[2:3], v[68:69], -v[70:71]
	v_add_f64_e32 v[68:69], v[138:139], v[60:61]
	v_add_f64_e32 v[70:71], v[94:95], v[62:63]
	;; [unrolled: 1-line block ×4, first 2 shown]
	v_add_f64_e64 v[94:95], v[94:95], -v[62:63]
	v_add_f64_e64 v[54:55], v[54:55], -v[50:51]
	v_add_f64_e32 v[134:135], v[16:17], v[36:37]
	v_fma_f64 v[60:61], v[100:101], s[6:7], v[104:105]
	v_fma_f64 v[62:63], v[144:145], s[2:3], v[106:107]
	v_add_f64_e32 v[138:139], v[8:9], v[4:5]
	v_add_f64_e32 v[140:141], v[10:11], v[6:7]
	;; [unrolled: 1-line block ×4, first 2 shown]
	v_add_f64_e64 v[6:7], v[6:7], -v[2:3]
	v_add_f64_e64 v[150:151], v[4:5], -v[0:1]
	v_fma_f64 v[68:69], v[68:69], -0.5, v[20:21]
	v_fma_f64 v[70:71], v[70:71], -0.5, v[22:23]
	;; [unrolled: 1-line block ×4, first 2 shown]
	v_add_f64_e32 v[20:21], v[126:127], v[48:49]
	v_add_f64_e32 v[22:23], v[128:129], v[50:51]
	v_fma_f64 v[48:49], v[54:55], s[2:3], v[52:53]
	v_fma_f64 v[52:53], v[54:55], s[6:7], v[52:53]
	v_add_f64_e32 v[16:17], v[124:125], v[56:57]
	v_add_f64_e32 v[28:29], v[134:135], v[40:41]
	;; [unrolled: 1-line block ×3, first 2 shown]
	v_fma_f64 v[40:41], v[66:67], s[2:3], v[96:97]
	v_fma_f64 v[42:43], v[64:65], s[6:7], v[98:99]
	v_fma_f64 v[56:57], v[100:101], s[2:3], v[104:105]
	v_fma_f64 v[66:67], v[148:149], s[6:7], v[110:111]
	v_lshlrev_b32_e32 v96, 4, v154
	v_add_f64_e32 v[0:1], v[138:139], v[0:1]
	v_add_f64_e32 v[2:3], v[140:141], v[2:3]
	v_fma_f64 v[8:9], v[112:113], -0.5, v[8:9]
	v_fma_f64 v[10:11], v[114:115], -0.5, v[10:11]
	v_fma_f64 v[32:33], v[94:95], s[2:3], v[68:69]
	v_fma_f64 v[34:35], v[120:121], s[6:7], v[70:71]
	;; [unrolled: 1-line block ×9, first 2 shown]
	s_wait_alu 0xf1ff
	v_cndmask_b32_e64 v94, 0, 0x900, s1
	v_and_b32_e32 v95, 0xffff, v152
	s_delay_alu instid0(VALU_DEP_2) | instskip(NEXT) | instid1(VALU_DEP_1)
	v_add_nc_u32_e32 v94, 0, v94
	v_add3_u32 v87, v94, v87, v80
	s_delay_alu instid0(VALU_DEP_3) | instskip(SKIP_1) | instid1(VALU_DEP_1)
	v_mad_u32_u24 v94, 0x900, v95, 0
	v_lshlrev_b32_e32 v95, 4, v153
	v_add3_u32 v94, v94, v95, v80
	v_add3_u32 v95, 0, v96, v80
	ds_store_b128 v73, v[12:15]
	ds_store_b128 v73, v[32:35] offset:768
	ds_store_b128 v73, v[36:39] offset:1536
	ds_store_b128 v87, v[20:23]
	ds_store_b128 v87, v[48:51] offset:768
	ds_store_b128 v87, v[52:55] offset:1536
	;; [unrolled: 1-line block ×5, first 2 shown]
	ds_store_b128 v94, v[24:27]
	ds_store_b128 v94, v[56:59] offset:768
	ds_store_b128 v94, v[60:63] offset:1536
	;; [unrolled: 1-line block ×5, first 2 shown]
	v_fma_f64 v[4:5], v[6:7], s[2:3], v[8:9]
	v_fma_f64 v[8:9], v[6:7], s[6:7], v[8:9]
	;; [unrolled: 1-line block ×4, first 2 shown]
	s_and_saveexec_b32 s1, s0
	s_cbranch_execz .LBB0_19
; %bb.18:
	v_lshlrev_b32_e32 v12, 4, v93
	s_delay_alu instid0(VALU_DEP_1)
	v_add3_u32 v12, 0, v12, v80
	ds_store_b128 v12, v[0:3] offset:4608
	ds_store_b128 v12, v[4:7] offset:5376
	;; [unrolled: 1-line block ×3, first 2 shown]
.LBB0_19:
	s_wait_alu 0xfffe
	s_or_b32 exec_lo, exec_lo, s1
	global_wb scope:SCOPE_SE
	s_wait_dscnt 0x0
	s_barrier_signal -1
	s_barrier_wait -1
	global_inv scope:SCOPE_SE
	ds_load_b128 v[20:23], v88
	ds_load_b128 v[40:43], v73 offset:2304
	ds_load_b128 v[44:47], v73 offset:4608
	;; [unrolled: 1-line block ×5, first 2 shown]
	ds_load_b128 v[24:27], v90
	ds_load_b128 v[16:19], v91
	ds_load_b128 v[64:67], v73 offset:5472
	ds_load_b128 v[48:51], v73 offset:5904
	ds_load_b128 v[12:15], v82
	ds_load_b128 v[68:71], v73 offset:3600
	ds_load_b128 v[52:55], v73 offset:4032
	ds_load_b128 v[28:31], v92
	ds_load_b128 v[60:63], v73 offset:6336
	s_and_saveexec_b32 s1, s0
	s_cbranch_execz .LBB0_21
; %bb.20:
	ds_load_b128 v[0:3], v86
	ds_load_b128 v[4:7], v73 offset:4464
	ds_load_b128 v[8:11], v73 offset:6768
.LBB0_21:
	s_wait_alu 0xfffe
	s_or_b32 exec_lo, exec_lo, s1
	v_dual_mov_b32 v87, 0 :: v_dual_lshlrev_b32 v86, 1, v79
	s_mov_b32 s6, s2
	s_delay_alu instid0(VALU_DEP_1) | instskip(SKIP_1) | instid1(VALU_DEP_1)
	v_lshlrev_b64_e32 v[93:94], 4, v[86:87]
	v_lshlrev_b32_e32 v86, 1, v83
	v_lshlrev_b64_e32 v[109:110], 4, v[86:87]
	v_lshlrev_b32_e32 v86, 1, v81
	s_delay_alu instid0(VALU_DEP_4)
	v_add_co_u32 v105, s1, s4, v93
	s_wait_alu 0xf1ff
	v_add_co_ci_u32_e64 v106, s1, s5, v94, s1
	s_clause 0x1
	global_load_b128 v[93:96], v[84:85], off offset:2256
	global_load_b128 v[97:100], v[84:85], off offset:2272
	v_lshlrev_b64_e32 v[84:85], 4, v[86:87]
	v_lshlrev_b32_e32 v86, 1, v78
	v_add_co_u32 v113, s1, s4, v109
	s_wait_alu 0xf1ff
	v_add_co_ci_u32_e64 v114, s1, s5, v110, s1
	s_delay_alu instid0(VALU_DEP_3)
	v_lshlrev_b64_e32 v[117:118], 4, v[86:87]
	s_clause 0x1
	global_load_b128 v[101:104], v[105:106], off offset:2272
	global_load_b128 v[105:108], v[105:106], off offset:2256
	v_add_co_u32 v84, s1, s4, v84
	s_wait_alu 0xf1ff
	v_add_co_ci_u32_e64 v85, s1, s5, v85, s1
	s_clause 0x1
	global_load_b128 v[109:112], v[113:114], off offset:2256
	global_load_b128 v[113:116], v[113:114], off offset:2272
	v_add_co_u32 v129, s1, s4, v117
	s_wait_alu 0xf1ff
	v_add_co_ci_u32_e64 v130, s1, s5, v118, s1
	s_clause 0x3
	global_load_b128 v[117:120], v[84:85], off offset:2256
	global_load_b128 v[121:124], v[84:85], off offset:2272
	;; [unrolled: 1-line block ×4, first 2 shown]
	global_wb scope:SCOPE_SE
	s_wait_loadcnt_dscnt 0x0
	s_barrier_signal -1
	s_barrier_wait -1
	global_inv scope:SCOPE_SE
	v_mul_f64_e32 v[84:85], v[42:43], v[95:96]
	v_mul_f64_e32 v[133:134], v[46:47], v[99:100]
	;; [unrolled: 1-line block ×20, first 2 shown]
	v_fma_f64 v[40:41], v[40:41], v[93:94], v[84:85]
	v_fma_f64 v[44:45], v[44:45], v[97:98], v[133:134]
	v_fma_f64 v[42:43], v[42:43], v[93:94], -v[95:96]
	v_fma_f64 v[46:47], v[46:47], v[97:98], -v[99:100]
	v_fma_f64 v[32:33], v[32:33], v[101:102], v[137:138]
	v_fma_f64 v[56:57], v[56:57], v[105:106], v[135:136]
	v_fma_f64 v[58:59], v[58:59], v[105:106], -v[107:108]
	v_fma_f64 v[34:35], v[34:35], v[101:102], -v[103:104]
	;; [unrolled: 4-line block ×5, first 2 shown]
	v_add_f64_e32 v[111:112], v[20:21], v[40:41]
	v_add_f64_e32 v[84:85], v[40:41], v[44:45]
	v_add_f64_e64 v[40:41], v[40:41], -v[44:45]
	v_add_f64_e32 v[93:94], v[42:43], v[46:47]
	v_add_f64_e64 v[113:114], v[42:43], -v[46:47]
	v_add_f64_e32 v[42:43], v[22:23], v[42:43]
	v_add_f64_e32 v[95:96], v[56:57], v[32:33]
	;; [unrolled: 1-line block ×5, first 2 shown]
	v_add_f64_e64 v[58:59], v[58:59], -v[34:35]
	v_add_f64_e32 v[99:100], v[36:37], v[64:65]
	v_add_f64_e64 v[56:57], v[56:57], -v[32:33]
	v_add_f64_e32 v[101:102], v[38:39], v[66:67]
	v_add_f64_e32 v[119:120], v[24:25], v[36:37]
	;; [unrolled: 1-line block ×9, first 2 shown]
	v_add_f64_e64 v[131:132], v[38:39], -v[66:67]
	v_add_f64_e64 v[133:134], v[36:37], -v[64:65]
	;; [unrolled: 1-line block ×4, first 2 shown]
	v_add_f64_e32 v[127:128], v[12:13], v[52:53]
	v_add_f64_e32 v[129:130], v[14:15], v[54:55]
	v_add_f64_e64 v[135:136], v[54:55], -v[62:63]
	v_add_f64_e64 v[137:138], v[52:53], -v[60:61]
	v_fma_f64 v[84:85], v[84:85], -0.5, v[20:21]
	v_fma_f64 v[93:94], v[93:94], -0.5, v[22:23]
	;; [unrolled: 1-line block ×6, first 2 shown]
	v_add_f64_e32 v[20:21], v[119:120], v[64:65]
	v_fma_f64 v[103:104], v[103:104], -0.5, v[16:17]
	v_add_f64_e32 v[16:17], v[115:116], v[32:33]
	v_fma_f64 v[105:106], v[105:106], -0.5, v[18:19]
	;; [unrolled: 2-line block ×4, first 2 shown]
	v_add_f64_e32 v[14:15], v[42:43], v[46:47]
	v_add_f64_e32 v[22:23], v[121:122], v[66:67]
	v_add_f64_e32 v[24:25], v[123:124], v[48:49]
	v_add_f64_e32 v[26:27], v[125:126], v[50:51]
	v_add_f64_e32 v[28:29], v[127:128], v[60:61]
	v_add_f64_e32 v[30:31], v[129:130], v[62:63]
	v_fma_f64 v[32:33], v[113:114], s[2:3], v[84:85]
	s_wait_alu 0xfffe
	v_fma_f64 v[36:37], v[113:114], s[6:7], v[84:85]
	v_fma_f64 v[34:35], v[40:41], s[6:7], v[93:94]
	;; [unrolled: 1-line block ×19, first 2 shown]
	ds_store_b128 v73, v[12:15]
	ds_store_b128 v73, v[32:35] offset:2304
	ds_store_b128 v73, v[36:39] offset:4608
	ds_store_b128 v92, v[16:19]
	ds_store_b128 v92, v[40:43] offset:2304
	ds_store_b128 v92, v[44:47] offset:4608
	;; [unrolled: 3-line block ×5, first 2 shown]
	s_and_saveexec_b32 s1, s0
	s_cbranch_execz .LBB0_23
; %bb.22:
	v_add_nc_u32_e32 v12, -9, v72
	s_delay_alu instid0(VALU_DEP_1) | instskip(NEXT) | instid1(VALU_DEP_1)
	v_cndmask_b32_e64 v12, v12, v76, s0
	v_lshlrev_b32_e32 v86, 1, v12
	s_delay_alu instid0(VALU_DEP_1) | instskip(NEXT) | instid1(VALU_DEP_1)
	v_lshlrev_b64_e32 v[12:13], 4, v[86:87]
	v_add_co_u32 v16, s0, s4, v12
	s_wait_alu 0xf1ff
	s_delay_alu instid0(VALU_DEP_2)
	v_add_co_ci_u32_e64 v17, s0, s5, v13, s0
	s_clause 0x1
	global_load_b128 v[12:15], v[16:17], off offset:2256
	global_load_b128 v[16:19], v[16:17], off offset:2272
	s_wait_loadcnt 0x1
	v_mul_f64_e32 v[20:21], v[4:5], v[14:15]
	s_wait_loadcnt 0x0
	v_mul_f64_e32 v[22:23], v[8:9], v[18:19]
	v_mul_f64_e32 v[14:15], v[6:7], v[14:15]
	;; [unrolled: 1-line block ×3, first 2 shown]
	s_delay_alu instid0(VALU_DEP_4) | instskip(NEXT) | instid1(VALU_DEP_4)
	v_fma_f64 v[6:7], v[6:7], v[12:13], -v[20:21]
	v_fma_f64 v[10:11], v[10:11], v[16:17], -v[22:23]
	s_delay_alu instid0(VALU_DEP_4) | instskip(NEXT) | instid1(VALU_DEP_4)
	v_fma_f64 v[4:5], v[4:5], v[12:13], v[14:15]
	v_fma_f64 v[8:9], v[8:9], v[16:17], v[18:19]
	s_delay_alu instid0(VALU_DEP_4) | instskip(NEXT) | instid1(VALU_DEP_4)
	v_add_f64_e32 v[18:19], v[2:3], v[6:7]
	v_add_f64_e32 v[12:13], v[6:7], v[10:11]
	v_add_f64_e64 v[20:21], v[6:7], -v[10:11]
	s_delay_alu instid0(VALU_DEP_4)
	v_add_f64_e32 v[14:15], v[4:5], v[8:9]
	v_add_f64_e64 v[16:17], v[4:5], -v[8:9]
	v_add_f64_e32 v[4:5], v[0:1], v[4:5]
	v_fma_f64 v[12:13], v[12:13], -0.5, v[2:3]
	v_add_f64_e32 v[2:3], v[18:19], v[10:11]
	v_fma_f64 v[14:15], v[14:15], -0.5, v[0:1]
	s_delay_alu instid0(VALU_DEP_4) | instskip(NEXT) | instid1(VALU_DEP_4)
	v_add_f64_e32 v[0:1], v[4:5], v[8:9]
	v_fma_f64 v[10:11], v[16:17], s[6:7], v[12:13]
	v_fma_f64 v[6:7], v[16:17], s[2:3], v[12:13]
	s_delay_alu instid0(VALU_DEP_4)
	v_fma_f64 v[8:9], v[20:21], s[2:3], v[14:15]
	v_fma_f64 v[4:5], v[20:21], s[6:7], v[14:15]
	ds_store_b128 v73, v[0:3] offset:2160
	ds_store_b128 v73, v[8:11] offset:4464
	;; [unrolled: 1-line block ×3, first 2 shown]
.LBB0_23:
	s_wait_alu 0xfffe
	s_or_b32 exec_lo, exec_lo, s1
	global_wb scope:SCOPE_SE
	s_wait_dscnt 0x0
	s_barrier_signal -1
	s_barrier_wait -1
	global_inv scope:SCOPE_SE
	ds_load_b128 v[4:7], v88
	v_sub_nc_u32_e32 v14, v89, v77
	s_mov_b32 s1, exec_lo
                                        ; implicit-def: $vgpr0_vgpr1
                                        ; implicit-def: $vgpr10_vgpr11
                                        ; implicit-def: $vgpr12_vgpr13
                                        ; implicit-def: $vgpr8_vgpr9
	v_cmpx_ne_u32_e32 0, v72
	s_wait_alu 0xfffe
	s_xor_b32 s1, exec_lo, s1
	s_cbranch_execz .LBB0_25
; %bb.24:
	v_mov_b32_e32 v73, 0
	s_delay_alu instid0(VALU_DEP_1) | instskip(NEXT) | instid1(VALU_DEP_1)
	v_lshlrev_b64_e32 v[0:1], 4, v[72:73]
	v_add_co_u32 v0, s0, s4, v0
	s_wait_alu 0xf1ff
	s_delay_alu instid0(VALU_DEP_2)
	v_add_co_ci_u32_e64 v1, s0, s5, v1, s0
	global_load_b128 v[8:11], v[0:1], off offset:6864
	ds_load_b128 v[0:3], v14 offset:6912
	s_wait_dscnt 0x0
	v_add_f64_e64 v[12:13], v[4:5], -v[0:1]
	v_add_f64_e32 v[15:16], v[6:7], v[2:3]
	v_add_f64_e64 v[2:3], v[6:7], -v[2:3]
	v_add_f64_e32 v[0:1], v[4:5], v[0:1]
	s_delay_alu instid0(VALU_DEP_4) | instskip(NEXT) | instid1(VALU_DEP_4)
	v_mul_f64_e32 v[6:7], 0.5, v[12:13]
	v_mul_f64_e32 v[4:5], 0.5, v[15:16]
	s_delay_alu instid0(VALU_DEP_4) | instskip(SKIP_1) | instid1(VALU_DEP_3)
	v_mul_f64_e32 v[2:3], 0.5, v[2:3]
	s_wait_loadcnt 0x0
	v_mul_f64_e32 v[12:13], v[6:7], v[10:11]
	s_delay_alu instid0(VALU_DEP_2) | instskip(SKIP_1) | instid1(VALU_DEP_3)
	v_fma_f64 v[15:16], v[4:5], v[10:11], v[2:3]
	v_fma_f64 v[2:3], v[4:5], v[10:11], -v[2:3]
	v_fma_f64 v[17:18], v[0:1], 0.5, v[12:13]
	v_fma_f64 v[0:1], v[0:1], 0.5, -v[12:13]
	s_delay_alu instid0(VALU_DEP_4) | instskip(NEXT) | instid1(VALU_DEP_4)
	v_fma_f64 v[12:13], -v[8:9], v[6:7], v[15:16]
	v_fma_f64 v[2:3], -v[8:9], v[6:7], v[2:3]
	s_delay_alu instid0(VALU_DEP_4) | instskip(NEXT) | instid1(VALU_DEP_4)
	v_fma_f64 v[10:11], v[4:5], v[8:9], v[17:18]
	v_fma_f64 v[0:1], -v[4:5], v[8:9], v[0:1]
	v_dual_mov_b32 v8, v72 :: v_dual_mov_b32 v9, v73
                                        ; implicit-def: $vgpr4_vgpr5
.LBB0_25:
	s_wait_alu 0xfffe
	s_and_not1_saveexec_b32 s0, s1
	s_cbranch_execz .LBB0_27
; %bb.26:
	s_wait_dscnt 0x0
	v_add_f64_e32 v[10:11], v[4:5], v[6:7]
	v_add_f64_e64 v[0:1], v[4:5], -v[6:7]
	ds_load_b64 v[4:5], v89 offset:3464
	v_mov_b32_e32 v12, 0
	v_dual_mov_b32 v13, 0 :: v_dual_mov_b32 v8, 0
	s_delay_alu instid0(VALU_DEP_2) | instskip(NEXT) | instid1(VALU_DEP_2)
	v_dual_mov_b32 v9, 0 :: v_dual_mov_b32 v2, v12
	v_mov_b32_e32 v3, v13
	s_wait_dscnt 0x0
	v_xor_b32_e32 v5, 0x80000000, v5
	ds_store_b64 v89, v[4:5] offset:3464
.LBB0_27:
	s_wait_alu 0xfffe
	s_or_b32 exec_lo, exec_lo, s0
	v_mov_b32_e32 v80, 0
	v_lshl_add_u32 v23, v79, 4, v89
	v_lshl_add_u32 v24, v83, 4, v89
	;; [unrolled: 1-line block ×4, first 2 shown]
	s_wait_dscnt 0x0
	v_lshlrev_b64_e32 v[4:5], 4, v[79:80]
	v_dual_mov_b32 v84, v80 :: v_dual_mov_b32 v79, v80
	v_dual_mov_b32 v82, v80 :: v_dual_mov_b32 v77, v80
	s_delay_alu instid0(VALU_DEP_2) | instskip(NEXT) | instid1(VALU_DEP_4)
	v_lshlrev_b64_e32 v[15:16], 4, v[83:84]
	v_add_co_u32 v4, s0, s4, v4
	s_wait_alu 0xf1ff
	v_add_co_ci_u32_e64 v5, s0, s5, v5, s0
	s_delay_alu instid0(VALU_DEP_3)
	v_add_co_u32 v15, s0, s4, v15
	global_load_b128 v[4:7], v[4:5], off offset:6864
	s_wait_alu 0xf1ff
	v_add_co_ci_u32_e64 v16, s0, s5, v16, s0
	global_load_b128 v[15:18], v[15:16], off offset:6864
	ds_store_2addr_b64 v88, v[10:11], v[12:13] offset1:1
	ds_store_b128 v14, v[0:3] offset:6912
	ds_load_b128 v[0:3], v23
	ds_load_b128 v[10:13], v14 offset:6480
	s_wait_dscnt 0x0
	v_add_f64_e64 v[19:20], v[0:1], -v[10:11]
	v_add_f64_e32 v[21:22], v[2:3], v[12:13]
	v_add_f64_e64 v[2:3], v[2:3], -v[12:13]
	v_add_f64_e32 v[0:1], v[0:1], v[10:11]
	s_delay_alu instid0(VALU_DEP_4) | instskip(NEXT) | instid1(VALU_DEP_4)
	v_mul_f64_e32 v[12:13], 0.5, v[19:20]
	v_mul_f64_e32 v[19:20], 0.5, v[21:22]
	s_delay_alu instid0(VALU_DEP_4) | instskip(SKIP_1) | instid1(VALU_DEP_3)
	v_mul_f64_e32 v[2:3], 0.5, v[2:3]
	s_wait_loadcnt 0x1
	v_mul_f64_e32 v[10:11], v[12:13], v[6:7]
	s_delay_alu instid0(VALU_DEP_2) | instskip(SKIP_1) | instid1(VALU_DEP_3)
	v_fma_f64 v[21:22], v[19:20], v[6:7], v[2:3]
	v_fma_f64 v[2:3], v[19:20], v[6:7], -v[2:3]
	v_fma_f64 v[6:7], v[0:1], 0.5, v[10:11]
	v_fma_f64 v[0:1], v[0:1], 0.5, -v[10:11]
	s_delay_alu instid0(VALU_DEP_4) | instskip(NEXT) | instid1(VALU_DEP_4)
	v_fma_f64 v[10:11], -v[4:5], v[12:13], v[21:22]
	v_fma_f64 v[2:3], -v[4:5], v[12:13], v[2:3]
	s_delay_alu instid0(VALU_DEP_4) | instskip(NEXT) | instid1(VALU_DEP_4)
	v_fma_f64 v[12:13], v[19:20], v[4:5], v[6:7]
	v_fma_f64 v[0:1], -v[19:20], v[4:5], v[0:1]
	v_lshlrev_b64_e32 v[4:5], 4, v[81:82]
	s_delay_alu instid0(VALU_DEP_1) | instskip(SKIP_1) | instid1(VALU_DEP_2)
	v_add_co_u32 v4, s0, s4, v4
	s_wait_alu 0xf1ff
	v_add_co_ci_u32_e64 v5, s0, s5, v5, s0
	global_load_b128 v[4:7], v[4:5], off offset:6864
	ds_store_2addr_b64 v23, v[12:13], v[10:11] offset1:1
	ds_store_b128 v14, v[0:3] offset:6480
	ds_load_b128 v[0:3], v24
	ds_load_b128 v[10:13], v14 offset:6048
	v_lshl_add_u32 v23, v81, 4, v89
	s_wait_dscnt 0x0
	v_add_f64_e64 v[19:20], v[0:1], -v[10:11]
	v_add_f64_e32 v[21:22], v[2:3], v[12:13]
	v_add_f64_e64 v[2:3], v[2:3], -v[12:13]
	v_add_f64_e32 v[0:1], v[0:1], v[10:11]
	s_delay_alu instid0(VALU_DEP_4) | instskip(NEXT) | instid1(VALU_DEP_4)
	v_mul_f64_e32 v[12:13], 0.5, v[19:20]
	v_mul_f64_e32 v[19:20], 0.5, v[21:22]
	s_delay_alu instid0(VALU_DEP_4) | instskip(SKIP_1) | instid1(VALU_DEP_3)
	v_mul_f64_e32 v[2:3], 0.5, v[2:3]
	s_wait_loadcnt 0x1
	v_mul_f64_e32 v[10:11], v[12:13], v[17:18]
	s_delay_alu instid0(VALU_DEP_2) | instskip(SKIP_1) | instid1(VALU_DEP_3)
	v_fma_f64 v[21:22], v[19:20], v[17:18], v[2:3]
	v_fma_f64 v[2:3], v[19:20], v[17:18], -v[2:3]
	v_fma_f64 v[17:18], v[0:1], 0.5, v[10:11]
	v_fma_f64 v[0:1], v[0:1], 0.5, -v[10:11]
	s_delay_alu instid0(VALU_DEP_4) | instskip(NEXT) | instid1(VALU_DEP_4)
	v_fma_f64 v[21:22], -v[15:16], v[12:13], v[21:22]
	v_fma_f64 v[2:3], -v[15:16], v[12:13], v[2:3]
	v_lshlrev_b64_e32 v[10:11], 4, v[78:79]
	s_delay_alu instid0(VALU_DEP_1) | instskip(SKIP_1) | instid1(VALU_DEP_2)
	v_add_co_u32 v10, s0, s4, v10
	s_wait_alu 0xf1ff
	v_add_co_ci_u32_e64 v11, s0, s5, v11, s0
	global_load_b128 v[10:13], v[10:11], off offset:6864
	v_fma_f64 v[17:18], v[19:20], v[15:16], v[17:18]
	v_fma_f64 v[0:1], -v[19:20], v[15:16], v[0:1]
	ds_store_2addr_b64 v24, v[17:18], v[21:22] offset1:1
	ds_store_b128 v14, v[0:3] offset:6048
	ds_load_b128 v[0:3], v23
	ds_load_b128 v[15:18], v14 offset:5616
	s_wait_dscnt 0x0
	v_add_f64_e64 v[19:20], v[0:1], -v[15:16]
	v_add_f64_e32 v[21:22], v[2:3], v[17:18]
	v_add_f64_e64 v[2:3], v[2:3], -v[17:18]
	v_add_f64_e32 v[0:1], v[0:1], v[15:16]
	s_delay_alu instid0(VALU_DEP_4) | instskip(NEXT) | instid1(VALU_DEP_4)
	v_mul_f64_e32 v[17:18], 0.5, v[19:20]
	v_mul_f64_e32 v[19:20], 0.5, v[21:22]
	s_delay_alu instid0(VALU_DEP_4) | instskip(SKIP_1) | instid1(VALU_DEP_3)
	v_mul_f64_e32 v[2:3], 0.5, v[2:3]
	s_wait_loadcnt 0x1
	v_mul_f64_e32 v[15:16], v[17:18], v[6:7]
	s_delay_alu instid0(VALU_DEP_2) | instskip(SKIP_1) | instid1(VALU_DEP_3)
	v_fma_f64 v[21:22], v[19:20], v[6:7], v[2:3]
	v_fma_f64 v[2:3], v[19:20], v[6:7], -v[2:3]
	v_fma_f64 v[6:7], v[0:1], 0.5, v[15:16]
	v_fma_f64 v[0:1], v[0:1], 0.5, -v[15:16]
	s_delay_alu instid0(VALU_DEP_4) | instskip(NEXT) | instid1(VALU_DEP_4)
	v_fma_f64 v[15:16], -v[4:5], v[17:18], v[21:22]
	v_fma_f64 v[2:3], -v[4:5], v[17:18], v[2:3]
	s_delay_alu instid0(VALU_DEP_4) | instskip(NEXT) | instid1(VALU_DEP_4)
	v_fma_f64 v[17:18], v[19:20], v[4:5], v[6:7]
	v_fma_f64 v[0:1], -v[19:20], v[4:5], v[0:1]
	v_lshlrev_b64_e32 v[4:5], 4, v[76:77]
	s_delay_alu instid0(VALU_DEP_1) | instskip(SKIP_1) | instid1(VALU_DEP_2)
	v_add_co_u32 v4, s0, s4, v4
	s_wait_alu 0xf1ff
	v_add_co_ci_u32_e64 v5, s0, s5, v5, s0
	s_add_nc_u64 s[0:1], s[4:5], 0x1ad0
	global_load_b128 v[4:7], v[4:5], off offset:6864
	ds_store_2addr_b64 v23, v[17:18], v[15:16] offset1:1
	ds_store_b128 v14, v[0:3] offset:5616
	ds_load_b128 v[0:3], v25
	ds_load_b128 v[15:18], v14 offset:5184
	s_wait_dscnt 0x0
	v_add_f64_e64 v[19:20], v[0:1], -v[15:16]
	v_add_f64_e32 v[21:22], v[2:3], v[17:18]
	v_add_f64_e64 v[2:3], v[2:3], -v[17:18]
	v_add_f64_e32 v[0:1], v[0:1], v[15:16]
	s_delay_alu instid0(VALU_DEP_4) | instskip(NEXT) | instid1(VALU_DEP_4)
	v_mul_f64_e32 v[17:18], 0.5, v[19:20]
	v_mul_f64_e32 v[19:20], 0.5, v[21:22]
	s_delay_alu instid0(VALU_DEP_4) | instskip(SKIP_1) | instid1(VALU_DEP_3)
	v_mul_f64_e32 v[2:3], 0.5, v[2:3]
	s_wait_loadcnt 0x1
	v_mul_f64_e32 v[15:16], v[17:18], v[12:13]
	s_delay_alu instid0(VALU_DEP_2) | instskip(SKIP_1) | instid1(VALU_DEP_3)
	v_fma_f64 v[21:22], v[19:20], v[12:13], v[2:3]
	v_fma_f64 v[2:3], v[19:20], v[12:13], -v[2:3]
	v_fma_f64 v[23:24], v[0:1], 0.5, v[15:16]
	v_fma_f64 v[0:1], v[0:1], 0.5, -v[15:16]
	s_delay_alu instid0(VALU_DEP_4) | instskip(NEXT) | instid1(VALU_DEP_4)
	v_fma_f64 v[21:22], -v[10:11], v[17:18], v[21:22]
	v_fma_f64 v[12:13], -v[10:11], v[17:18], v[2:3]
	s_delay_alu instid0(VALU_DEP_4) | instskip(NEXT) | instid1(VALU_DEP_4)
	v_fma_f64 v[2:3], v[19:20], v[10:11], v[23:24]
	v_fma_f64 v[10:11], -v[19:20], v[10:11], v[0:1]
	v_lshlrev_b64_e32 v[0:1], 4, v[8:9]
	s_wait_alu 0xfffe
	s_delay_alu instid0(VALU_DEP_1) | instskip(SKIP_1) | instid1(VALU_DEP_2)
	v_add_co_u32 v23, s0, s0, v0
	s_wait_alu 0xf1ff
	v_add_co_ci_u32_e64 v24, s0, s1, v1, s0
	global_load_b128 v[15:18], v[23:24], off offset:2592
	ds_store_2addr_b64 v25, v[2:3], v[21:22] offset1:1
	ds_store_b128 v14, v[10:13] offset:5184
	ds_load_b128 v[8:11], v26
	ds_load_b128 v[19:22], v14 offset:4752
	s_wait_dscnt 0x0
	v_add_f64_e64 v[2:3], v[8:9], -v[19:20]
	v_add_f64_e32 v[12:13], v[10:11], v[21:22]
	v_add_f64_e64 v[10:11], v[10:11], -v[21:22]
	v_add_f64_e32 v[8:9], v[8:9], v[19:20]
	s_delay_alu instid0(VALU_DEP_4) | instskip(NEXT) | instid1(VALU_DEP_4)
	v_mul_f64_e32 v[2:3], 0.5, v[2:3]
	v_mul_f64_e32 v[12:13], 0.5, v[12:13]
	s_delay_alu instid0(VALU_DEP_4) | instskip(SKIP_1) | instid1(VALU_DEP_3)
	v_mul_f64_e32 v[10:11], 0.5, v[10:11]
	s_wait_loadcnt 0x1
	v_mul_f64_e32 v[19:20], v[2:3], v[6:7]
	s_delay_alu instid0(VALU_DEP_2) | instskip(SKIP_1) | instid1(VALU_DEP_3)
	v_fma_f64 v[21:22], v[12:13], v[6:7], v[10:11]
	v_fma_f64 v[6:7], v[12:13], v[6:7], -v[10:11]
	v_fma_f64 v[10:11], v[8:9], 0.5, v[19:20]
	v_fma_f64 v[8:9], v[8:9], 0.5, -v[19:20]
	s_delay_alu instid0(VALU_DEP_4) | instskip(NEXT) | instid1(VALU_DEP_4)
	v_fma_f64 v[19:20], -v[4:5], v[2:3], v[21:22]
	v_fma_f64 v[6:7], -v[4:5], v[2:3], v[6:7]
	s_delay_alu instid0(VALU_DEP_4) | instskip(NEXT) | instid1(VALU_DEP_4)
	v_fma_f64 v[2:3], v[12:13], v[4:5], v[10:11]
	v_fma_f64 v[4:5], -v[12:13], v[4:5], v[8:9]
	global_load_b128 v[8:11], v[23:24], off offset:3024
	ds_store_2addr_b64 v26, v[2:3], v[19:20] offset1:1
	ds_store_b128 v14, v[4:7] offset:4752
	ds_load_b128 v[2:5], v88 offset:2592
	ds_load_b128 v[19:22], v14 offset:4320
	s_wait_dscnt 0x0
	v_add_f64_e64 v[6:7], v[2:3], -v[19:20]
	v_add_f64_e32 v[12:13], v[4:5], v[21:22]
	v_add_f64_e64 v[4:5], v[4:5], -v[21:22]
	v_add_f64_e32 v[2:3], v[2:3], v[19:20]
	s_delay_alu instid0(VALU_DEP_4) | instskip(NEXT) | instid1(VALU_DEP_4)
	v_mul_f64_e32 v[6:7], 0.5, v[6:7]
	v_mul_f64_e32 v[12:13], 0.5, v[12:13]
	s_delay_alu instid0(VALU_DEP_4) | instskip(SKIP_1) | instid1(VALU_DEP_3)
	v_mul_f64_e32 v[4:5], 0.5, v[4:5]
	s_wait_loadcnt 0x1
	v_mul_f64_e32 v[19:20], v[6:7], v[17:18]
	s_delay_alu instid0(VALU_DEP_2) | instskip(SKIP_1) | instid1(VALU_DEP_3)
	v_fma_f64 v[21:22], v[12:13], v[17:18], v[4:5]
	v_fma_f64 v[4:5], v[12:13], v[17:18], -v[4:5]
	v_fma_f64 v[17:18], v[2:3], 0.5, v[19:20]
	v_fma_f64 v[2:3], v[2:3], 0.5, -v[19:20]
	s_delay_alu instid0(VALU_DEP_4) | instskip(NEXT) | instid1(VALU_DEP_4)
	v_fma_f64 v[19:20], -v[15:16], v[6:7], v[21:22]
	v_fma_f64 v[4:5], -v[15:16], v[6:7], v[4:5]
	v_add_nc_u32_e32 v21, 0x800, v88
	v_fma_f64 v[6:7], v[12:13], v[15:16], v[17:18]
	v_fma_f64 v[2:3], -v[12:13], v[15:16], v[2:3]
	ds_store_2addr_b64 v21, v[6:7], v[19:20] offset0:68 offset1:69
	ds_store_b128 v14, v[2:5] offset:4320
	ds_load_b128 v[2:5], v88 offset:3024
	ds_load_b128 v[15:18], v14 offset:3888
	s_wait_dscnt 0x0
	v_add_f64_e64 v[6:7], v[2:3], -v[15:16]
	v_add_f64_e32 v[12:13], v[4:5], v[17:18]
	v_add_f64_e64 v[4:5], v[4:5], -v[17:18]
	v_add_f64_e32 v[2:3], v[2:3], v[15:16]
	s_delay_alu instid0(VALU_DEP_4) | instskip(NEXT) | instid1(VALU_DEP_4)
	v_mul_f64_e32 v[6:7], 0.5, v[6:7]
	v_mul_f64_e32 v[12:13], 0.5, v[12:13]
	s_delay_alu instid0(VALU_DEP_4) | instskip(SKIP_1) | instid1(VALU_DEP_3)
	v_mul_f64_e32 v[4:5], 0.5, v[4:5]
	s_wait_loadcnt 0x0
	v_mul_f64_e32 v[15:16], v[6:7], v[10:11]
	s_delay_alu instid0(VALU_DEP_2) | instskip(SKIP_1) | instid1(VALU_DEP_3)
	v_fma_f64 v[17:18], v[12:13], v[10:11], v[4:5]
	v_fma_f64 v[4:5], v[12:13], v[10:11], -v[4:5]
	v_fma_f64 v[10:11], v[2:3], 0.5, v[15:16]
	v_fma_f64 v[2:3], v[2:3], 0.5, -v[15:16]
	s_delay_alu instid0(VALU_DEP_4) | instskip(NEXT) | instid1(VALU_DEP_4)
	v_fma_f64 v[15:16], -v[8:9], v[6:7], v[17:18]
	v_fma_f64 v[4:5], -v[8:9], v[6:7], v[4:5]
	s_delay_alu instid0(VALU_DEP_4) | instskip(NEXT) | instid1(VALU_DEP_4)
	v_fma_f64 v[6:7], v[12:13], v[8:9], v[10:11]
	v_fma_f64 v[2:3], -v[12:13], v[8:9], v[2:3]
	ds_store_2addr_b64 v21, v[6:7], v[15:16] offset0:122 offset1:123
	ds_store_b128 v14, v[2:5] offset:3888
	global_wb scope:SCOPE_SE
	s_wait_dscnt 0x0
	s_barrier_signal -1
	s_barrier_wait -1
	global_inv scope:SCOPE_SE
	s_and_saveexec_b32 s0, vcc_lo
	s_cbranch_execz .LBB0_30
; %bb.28:
	ds_load_b128 v[4:7], v88
	ds_load_b128 v[8:11], v88 offset:432
	ds_load_b128 v[12:15], v88 offset:864
	;; [unrolled: 1-line block ×15, first 2 shown]
	v_add_co_u32 v2, vcc_lo, s8, v74
	s_wait_alu 0xfffd
	v_add_co_ci_u32_e32 v3, vcc_lo, s9, v75, vcc_lo
	s_delay_alu instid0(VALU_DEP_2) | instskip(SKIP_1) | instid1(VALU_DEP_2)
	v_add_co_u32 v0, vcc_lo, v2, v0
	s_wait_alu 0xfffd
	v_add_co_ci_u32_e32 v1, vcc_lo, v3, v1, vcc_lo
	v_cmp_eq_u32_e32 vcc_lo, 26, v72
	s_wait_dscnt 0xf
	global_store_b128 v[0:1], v[4:7], off
	s_wait_dscnt 0xe
	global_store_b128 v[0:1], v[8:11], off offset:432
	s_wait_dscnt 0xd
	global_store_b128 v[0:1], v[12:15], off offset:864
	;; [unrolled: 2-line block ×15, first 2 shown]
	s_and_b32 exec_lo, exec_lo, vcc_lo
	s_cbranch_execz .LBB0_30
; %bb.29:
	ds_load_b128 v[4:7], v88 offset:6496
	s_wait_dscnt 0x0
	global_store_b128 v[2:3], v[4:7], off offset:6912
.LBB0_30:
	s_nop 0
	s_sendmsg sendmsg(MSG_DEALLOC_VGPRS)
	s_endpgm
	.section	.rodata,"a",@progbits
	.p2align	6, 0x0
	.amdhsa_kernel fft_rtc_back_len432_factors_3_16_3_3_wgs_54_tpt_27_halfLds_dp_ip_CI_unitstride_sbrr_R2C_dirReg
		.amdhsa_group_segment_fixed_size 0
		.amdhsa_private_segment_fixed_size 0
		.amdhsa_kernarg_size 88
		.amdhsa_user_sgpr_count 2
		.amdhsa_user_sgpr_dispatch_ptr 0
		.amdhsa_user_sgpr_queue_ptr 0
		.amdhsa_user_sgpr_kernarg_segment_ptr 1
		.amdhsa_user_sgpr_dispatch_id 0
		.amdhsa_user_sgpr_private_segment_size 0
		.amdhsa_wavefront_size32 1
		.amdhsa_uses_dynamic_stack 0
		.amdhsa_enable_private_segment 0
		.amdhsa_system_sgpr_workgroup_id_x 1
		.amdhsa_system_sgpr_workgroup_id_y 0
		.amdhsa_system_sgpr_workgroup_id_z 0
		.amdhsa_system_sgpr_workgroup_info 0
		.amdhsa_system_vgpr_workitem_id 0
		.amdhsa_next_free_vgpr 155
		.amdhsa_next_free_sgpr 32
		.amdhsa_reserve_vcc 1
		.amdhsa_float_round_mode_32 0
		.amdhsa_float_round_mode_16_64 0
		.amdhsa_float_denorm_mode_32 3
		.amdhsa_float_denorm_mode_16_64 3
		.amdhsa_fp16_overflow 0
		.amdhsa_workgroup_processor_mode 1
		.amdhsa_memory_ordered 1
		.amdhsa_forward_progress 0
		.amdhsa_round_robin_scheduling 0
		.amdhsa_exception_fp_ieee_invalid_op 0
		.amdhsa_exception_fp_denorm_src 0
		.amdhsa_exception_fp_ieee_div_zero 0
		.amdhsa_exception_fp_ieee_overflow 0
		.amdhsa_exception_fp_ieee_underflow 0
		.amdhsa_exception_fp_ieee_inexact 0
		.amdhsa_exception_int_div_zero 0
	.end_amdhsa_kernel
	.text
.Lfunc_end0:
	.size	fft_rtc_back_len432_factors_3_16_3_3_wgs_54_tpt_27_halfLds_dp_ip_CI_unitstride_sbrr_R2C_dirReg, .Lfunc_end0-fft_rtc_back_len432_factors_3_16_3_3_wgs_54_tpt_27_halfLds_dp_ip_CI_unitstride_sbrr_R2C_dirReg
                                        ; -- End function
	.section	.AMDGPU.csdata,"",@progbits
; Kernel info:
; codeLenInByte = 10980
; NumSgprs: 34
; NumVgprs: 155
; ScratchSize: 0
; MemoryBound: 0
; FloatMode: 240
; IeeeMode: 1
; LDSByteSize: 0 bytes/workgroup (compile time only)
; SGPRBlocks: 4
; VGPRBlocks: 19
; NumSGPRsForWavesPerEU: 34
; NumVGPRsForWavesPerEU: 155
; Occupancy: 9
; WaveLimiterHint : 1
; COMPUTE_PGM_RSRC2:SCRATCH_EN: 0
; COMPUTE_PGM_RSRC2:USER_SGPR: 2
; COMPUTE_PGM_RSRC2:TRAP_HANDLER: 0
; COMPUTE_PGM_RSRC2:TGID_X_EN: 1
; COMPUTE_PGM_RSRC2:TGID_Y_EN: 0
; COMPUTE_PGM_RSRC2:TGID_Z_EN: 0
; COMPUTE_PGM_RSRC2:TIDIG_COMP_CNT: 0
	.text
	.p2alignl 7, 3214868480
	.fill 96, 4, 3214868480
	.type	__hip_cuid_491e6520d6e639c0,@object ; @__hip_cuid_491e6520d6e639c0
	.section	.bss,"aw",@nobits
	.globl	__hip_cuid_491e6520d6e639c0
__hip_cuid_491e6520d6e639c0:
	.byte	0                               ; 0x0
	.size	__hip_cuid_491e6520d6e639c0, 1

	.ident	"AMD clang version 19.0.0git (https://github.com/RadeonOpenCompute/llvm-project roc-6.4.0 25133 c7fe45cf4b819c5991fe208aaa96edf142730f1d)"
	.section	".note.GNU-stack","",@progbits
	.addrsig
	.addrsig_sym __hip_cuid_491e6520d6e639c0
	.amdgpu_metadata
---
amdhsa.kernels:
  - .args:
      - .actual_access:  read_only
        .address_space:  global
        .offset:         0
        .size:           8
        .value_kind:     global_buffer
      - .offset:         8
        .size:           8
        .value_kind:     by_value
      - .actual_access:  read_only
        .address_space:  global
        .offset:         16
        .size:           8
        .value_kind:     global_buffer
      - .actual_access:  read_only
        .address_space:  global
        .offset:         24
        .size:           8
        .value_kind:     global_buffer
      - .offset:         32
        .size:           8
        .value_kind:     by_value
      - .actual_access:  read_only
        .address_space:  global
        .offset:         40
        .size:           8
        .value_kind:     global_buffer
      - .actual_access:  read_only
        .address_space:  global
        .offset:         48
        .size:           8
        .value_kind:     global_buffer
      - .offset:         56
        .size:           4
        .value_kind:     by_value
      - .actual_access:  read_only
        .address_space:  global
        .offset:         64
        .size:           8
        .value_kind:     global_buffer
      - .actual_access:  read_only
        .address_space:  global
        .offset:         72
        .size:           8
        .value_kind:     global_buffer
      - .address_space:  global
        .offset:         80
        .size:           8
        .value_kind:     global_buffer
    .group_segment_fixed_size: 0
    .kernarg_segment_align: 8
    .kernarg_segment_size: 88
    .language:       OpenCL C
    .language_version:
      - 2
      - 0
    .max_flat_workgroup_size: 54
    .name:           fft_rtc_back_len432_factors_3_16_3_3_wgs_54_tpt_27_halfLds_dp_ip_CI_unitstride_sbrr_R2C_dirReg
    .private_segment_fixed_size: 0
    .sgpr_count:     34
    .sgpr_spill_count: 0
    .symbol:         fft_rtc_back_len432_factors_3_16_3_3_wgs_54_tpt_27_halfLds_dp_ip_CI_unitstride_sbrr_R2C_dirReg.kd
    .uniform_work_group_size: 1
    .uses_dynamic_stack: false
    .vgpr_count:     155
    .vgpr_spill_count: 0
    .wavefront_size: 32
    .workgroup_processor_mode: 1
amdhsa.target:   amdgcn-amd-amdhsa--gfx1201
amdhsa.version:
  - 1
  - 2
...

	.end_amdgpu_metadata
